;; amdgpu-corpus repo=ROCm/rocFFT kind=compiled arch=gfx1030 opt=O3
	.text
	.amdgcn_target "amdgcn-amd-amdhsa--gfx1030"
	.amdhsa_code_object_version 6
	.protected	bluestein_single_back_len858_dim1_dp_op_CI_CI ; -- Begin function bluestein_single_back_len858_dim1_dp_op_CI_CI
	.globl	bluestein_single_back_len858_dim1_dp_op_CI_CI
	.p2align	8
	.type	bluestein_single_back_len858_dim1_dp_op_CI_CI,@function
bluestein_single_back_len858_dim1_dp_op_CI_CI: ; @bluestein_single_back_len858_dim1_dp_op_CI_CI
; %bb.0:
	s_load_dwordx4 s[0:3], s[4:5], 0x28
	v_mul_u32_u24_e32 v1, 0x349, v0
	v_lshrrev_b32_e32 v1, 16, v1
	v_mad_u64_u32 v[136:137], null, s6, 3, v[1:2]
	v_mov_b32_e32 v137, 0
	s_waitcnt lgkmcnt(0)
	v_cmp_gt_u64_e32 vcc_lo, s[0:1], v[136:137]
	s_and_saveexec_b32 s0, vcc_lo
	s_cbranch_execz .LBB0_23
; %bb.1:
	v_mul_hi_u32 v2, 0xaaaaaaab, v136
	s_clause 0x1
	s_load_dwordx2 s[14:15], s[4:5], 0x0
	s_load_dwordx2 s[12:13], s[4:5], 0x38
	v_mul_lo_u16 v1, 0x4e, v1
	v_sub_nc_u16 v0, v0, v1
	v_lshrrev_b32_e32 v2, 1, v2
	v_and_b32_e32 v209, 0xffff, v0
	v_lshl_add_u32 v2, v2, 1, v2
	v_cmp_gt_u16_e32 vcc_lo, 0x42, v0
	v_lshlrev_b32_e32 v210, 4, v209
	v_sub_nc_u32_e32 v1, v136, v2
	v_mul_u32_u24_e32 v157, 0x35a, v1
	v_lshlrev_b32_e32 v211, 4, v157
	s_and_saveexec_b32 s1, vcc_lo
	s_cbranch_execz .LBB0_3
; %bb.2:
	s_load_dwordx2 s[6:7], s[4:5], 0x18
	s_waitcnt lgkmcnt(0)
	v_add_co_u32 v10, s0, s14, v210
	v_add_co_ci_u32_e64 v11, null, s15, 0, s0
	v_add_co_u32 v12, s0, 0x800, v10
	v_add_co_ci_u32_e64 v13, s0, 0, v11, s0
	v_add_co_u32 v20, s0, 0x1000, v10
	v_add_co_ci_u32_e64 v21, s0, 0, v11, s0
	;; [unrolled: 2-line block ×3, first 2 shown]
	v_add_co_u32 v36, s0, 0x2000, v10
	s_load_dwordx4 s[8:11], s[6:7], 0x0
	v_add_co_ci_u32_e64 v37, s0, 0, v11, s0
	v_add_co_u32 v88, s0, 0x2800, v10
	v_add_co_ci_u32_e64 v89, s0, 0, v11, s0
	v_add_co_u32 v96, s0, 0x3000, v10
	v_add_co_ci_u32_e64 v97, s0, 0, v11, s0
	s_clause 0x1
	global_load_dwordx4 v[0:3], v210, s[14:15]
	global_load_dwordx4 v[4:7], v210, s[14:15] offset:1056
	s_waitcnt lgkmcnt(0)
	v_mad_u64_u32 v[16:17], null, s10, v136, 0
	v_mad_u64_u32 v[24:25], null, s8, v209, 0
	s_mul_i32 s6, s9, 0x420
	s_mul_hi_u32 s7, s8, 0x420
	s_add_i32 s7, s7, s6
	v_mov_b32_e32 v8, v17
	v_mad_u64_u32 v[8:9], null, s11, v136, v[8:9]
	v_mov_b32_e32 v9, v25
	v_mad_u64_u32 v[18:19], null, s9, v209, v[9:10]
	v_mov_b32_e32 v17, v8
	s_clause 0x1
	global_load_dwordx4 v[8:11], v[12:13], off offset:64
	global_load_dwordx4 v[12:15], v[12:13], off offset:1120
	v_lshlrev_b64 v[26:27], 4, v[16:17]
	v_mov_b32_e32 v25, v18
	s_clause 0x1
	global_load_dwordx4 v[16:19], v[20:21], off offset:128
	global_load_dwordx4 v[20:23], v[20:21], off offset:1184
	v_lshlrev_b64 v[24:25], 4, v[24:25]
	v_add_co_u32 v26, s0, s2, v26
	v_add_co_ci_u32_e64 v27, s0, s3, v27, s0
	s_mul_i32 s2, s8, 0x420
	v_add_co_u32 v40, s0, v26, v24
	v_add_co_ci_u32_e64 v41, s0, v27, v25, s0
	s_clause 0x1
	global_load_dwordx4 v[24:27], v[28:29], off offset:192
	global_load_dwordx4 v[28:31], v[28:29], off offset:1248
	v_add_co_u32 v44, s0, v40, s2
	v_add_co_ci_u32_e64 v45, s0, s7, v41, s0
	s_clause 0x1
	global_load_dwordx4 v[32:35], v[36:37], off offset:256
	global_load_dwordx4 v[36:39], v[36:37], off offset:1312
	v_add_co_u32 v48, s0, v44, s2
	v_add_co_ci_u32_e64 v49, s0, s7, v45, s0
	s_clause 0x1
	global_load_dwordx4 v[40:43], v[40:41], off
	global_load_dwordx4 v[44:47], v[44:45], off
	v_add_co_u32 v52, s0, v48, s2
	v_add_co_ci_u32_e64 v53, s0, s7, v49, s0
	global_load_dwordx4 v[48:51], v[48:49], off
	v_add_co_u32 v56, s0, v52, s2
	v_add_co_ci_u32_e64 v57, s0, s7, v53, s0
	v_add_co_u32 v60, s0, v56, s2
	v_add_co_ci_u32_e64 v61, s0, s7, v57, s0
	s_clause 0x1
	global_load_dwordx4 v[52:55], v[52:53], off
	global_load_dwordx4 v[56:59], v[56:57], off
	v_add_co_u32 v64, s0, v60, s2
	v_add_co_ci_u32_e64 v65, s0, s7, v61, s0
	global_load_dwordx4 v[60:63], v[60:61], off
	v_add_co_u32 v68, s0, v64, s2
	v_add_co_ci_u32_e64 v69, s0, s7, v65, s0
	;; [unrolled: 3-line block ×7, first 2 shown]
	s_clause 0x1
	global_load_dwordx4 v[84:87], v[88:89], off offset:320
	global_load_dwordx4 v[88:91], v[88:89], off offset:1376
	global_load_dwordx4 v[92:95], v[92:93], off
	global_load_dwordx4 v[96:99], v[96:97], off offset:384
	global_load_dwordx4 v[100:103], v[100:101], off
	s_waitcnt vmcnt(15)
	v_mul_f64 v[104:105], v[42:43], v[2:3]
	v_mul_f64 v[2:3], v[40:41], v[2:3]
	s_waitcnt vmcnt(14)
	v_mul_f64 v[106:107], v[46:47], v[6:7]
	v_mul_f64 v[6:7], v[44:45], v[6:7]
	;; [unrolled: 3-line block ×5, first 2 shown]
	v_fma_f64 v[40:41], v[40:41], v[0:1], v[104:105]
	s_waitcnt vmcnt(10)
	v_mul_f64 v[104:105], v[62:63], v[22:23]
	v_mul_f64 v[22:23], v[60:61], v[22:23]
	v_fma_f64 v[42:43], v[42:43], v[0:1], -v[2:3]
	v_fma_f64 v[0:1], v[44:45], v[4:5], v[106:107]
	s_waitcnt vmcnt(9)
	v_mul_f64 v[44:45], v[66:67], v[26:27]
	v_mul_f64 v[26:27], v[64:65], v[26:27]
	v_fma_f64 v[2:3], v[46:47], v[4:5], -v[6:7]
	;; [unrolled: 5-line block ×3, first 2 shown]
	s_waitcnt vmcnt(7)
	v_mul_f64 v[106:107], v[74:75], v[34:35]
	v_mul_f64 v[34:35], v[72:73], v[34:35]
	v_fma_f64 v[8:9], v[52:53], v[12:13], v[110:111]
	v_fma_f64 v[10:11], v[54:55], v[12:13], -v[14:15]
	v_fma_f64 v[12:13], v[56:57], v[16:17], v[112:113]
	s_waitcnt vmcnt(6)
	v_mul_f64 v[114:115], v[78:79], v[38:39]
	v_mul_f64 v[38:39], v[76:77], v[38:39]
	v_fma_f64 v[14:15], v[58:59], v[16:17], -v[18:19]
	v_lshl_add_u32 v52, v209, 4, v211
	v_fma_f64 v[16:17], v[60:61], v[20:21], v[104:105]
	v_fma_f64 v[18:19], v[62:63], v[20:21], -v[22:23]
	s_waitcnt vmcnt(4)
	v_mul_f64 v[116:117], v[82:83], v[86:87]
	v_mul_f64 v[86:87], v[80:81], v[86:87]
	s_waitcnt vmcnt(2)
	v_mul_f64 v[118:119], v[94:95], v[90:91]
	v_mul_f64 v[90:91], v[92:93], v[90:91]
	;; [unrolled: 3-line block ×3, first 2 shown]
	v_fma_f64 v[20:21], v[64:65], v[24:25], v[44:45]
	v_fma_f64 v[22:23], v[66:67], v[24:25], -v[26:27]
	v_fma_f64 v[24:25], v[68:69], v[28:29], v[46:47]
	v_fma_f64 v[26:27], v[70:71], v[28:29], -v[30:31]
	v_add_nc_u32_e32 v53, v211, v210
	v_fma_f64 v[28:29], v[72:73], v[32:33], v[106:107]
	v_fma_f64 v[30:31], v[74:75], v[32:33], -v[34:35]
	v_fma_f64 v[32:33], v[76:77], v[36:37], v[114:115]
	v_fma_f64 v[34:35], v[78:79], v[36:37], -v[38:39]
	;; [unrolled: 2-line block ×5, first 2 shown]
	ds_write_b128 v52, v[40:43]
	ds_write_b128 v53, v[0:3] offset:1056
	ds_write_b128 v53, v[4:7] offset:2112
	;; [unrolled: 1-line block ×12, first 2 shown]
.LBB0_3:
	s_or_b32 exec_lo, exec_lo, s1
	s_clause 0x1
	s_load_dwordx2 s[0:1], s[4:5], 0x20
	s_load_dwordx2 s[2:3], s[4:5], 0x8
	s_waitcnt lgkmcnt(0)
	s_barrier
	buffer_gl0_inv
                                        ; implicit-def: $vgpr16_vgpr17
                                        ; implicit-def: $vgpr52_vgpr53
                                        ; implicit-def: $vgpr48_vgpr49
                                        ; implicit-def: $vgpr44_vgpr45
                                        ; implicit-def: $vgpr40_vgpr41
                                        ; implicit-def: $vgpr36_vgpr37
                                        ; implicit-def: $vgpr32_vgpr33
                                        ; implicit-def: $vgpr28_vgpr29
                                        ; implicit-def: $vgpr24_vgpr25
                                        ; implicit-def: $vgpr20_vgpr21
                                        ; implicit-def: $vgpr12_vgpr13
                                        ; implicit-def: $vgpr8_vgpr9
                                        ; implicit-def: $vgpr4_vgpr5
	s_and_saveexec_b32 s4, vcc_lo
	s_cbranch_execz .LBB0_5
; %bb.4:
	v_lshl_add_u32 v0, v157, 4, v210
	ds_read_b128 v[16:19], v0
	ds_read_b128 v[52:55], v0 offset:1056
	ds_read_b128 v[48:51], v0 offset:2112
	;; [unrolled: 1-line block ×12, first 2 shown]
.LBB0_5:
	s_or_b32 exec_lo, exec_lo, s4
	s_waitcnt lgkmcnt(0)
	v_add_f64 v[149:150], v[54:55], -v[6:7]
	v_add_f64 v[62:63], v[52:53], -v[4:5]
	s_mov_b32 s4, 0x4267c47c
	s_mov_b32 s6, 0x42a4c3d2
	;; [unrolled: 1-line block ×4, first 2 shown]
	v_add_f64 v[60:61], v[52:53], v[4:5]
	v_add_f64 v[151:152], v[54:55], v[6:7]
	v_add_f64 v[56:57], v[50:51], -v[10:11]
	v_add_f64 v[58:59], v[48:49], -v[8:9]
	s_mov_b32 s10, 0xe00740e9
	s_mov_b32 s8, 0x1ea71119
	;; [unrolled: 1-line block ×6, first 2 shown]
	v_add_f64 v[74:75], v[48:49], v[8:9]
	v_add_f64 v[143:144], v[50:51], v[10:11]
	v_add_f64 v[108:109], v[46:47], -v[14:15]
	v_add_f64 v[88:89], v[44:45], -v[12:13]
	s_mov_b32 s28, 0x66966769
	s_mov_b32 s24, 0xb2365da1
	v_mul_f64 v[64:65], v[149:150], s[4:5]
	v_mul_f64 v[66:67], v[62:63], s[4:5]
	v_mul_f64 v[153:154], v[149:150], s[6:7]
	v_mul_f64 v[155:156], v[62:63], s[6:7]
	s_mov_b32 s34, 0x4bc48dbf
	s_mov_b32 s29, 0xbfefc445
	;; [unrolled: 1-line block ×4, first 2 shown]
	v_mul_f64 v[80:81], v[56:57], s[6:7]
	v_mul_f64 v[94:95], v[58:59], s[6:7]
	;; [unrolled: 1-line block ×4, first 2 shown]
	v_add_f64 v[114:115], v[44:45], v[12:13]
	v_add_f64 v[147:148], v[46:47], v[14:15]
	v_add_f64 v[68:69], v[40:41], -v[20:21]
	v_add_f64 v[92:93], v[42:43], -v[22:23]
	s_mov_b32 s30, 0xebaa3ed8
	s_mov_b32 s16, 0x24c2f84
	v_mul_f64 v[90:91], v[108:109], s[28:29]
	v_mul_f64 v[102:103], v[88:89], s[28:29]
	;; [unrolled: 1-line block ×4, first 2 shown]
	v_fma_f64 v[0:1], v[60:61], s[10:11], v[64:65]
	v_fma_f64 v[2:3], v[151:152], s[10:11], -v[66:67]
	v_fma_f64 v[70:71], v[60:61], s[8:9], v[153:154]
	v_fma_f64 v[72:73], v[151:152], s[8:9], -v[155:156]
	s_mov_b32 s26, 0x93053d00
	s_mov_b32 s31, 0x3fbedb7d
	;; [unrolled: 1-line block ×4, first 2 shown]
	v_fma_f64 v[78:79], v[74:75], s[8:9], v[80:81]
	v_fma_f64 v[82:83], v[143:144], s[8:9], -v[94:95]
	v_fma_f64 v[84:85], v[74:75], s[24:25], v[122:123]
	v_fma_f64 v[86:87], v[143:144], s[24:25], -v[128:129]
	v_add_f64 v[76:77], v[40:41], v[20:21]
	v_add_f64 v[134:135], v[42:43], v[22:23]
	v_add_f64 v[100:101], v[38:39], -v[26:27]
	v_mul_f64 v[96:97], v[92:93], s[18:19]
	v_mul_f64 v[98:99], v[68:69], s[18:19]
	;; [unrolled: 1-line block ×4, first 2 shown]
	v_fma_f64 v[112:113], v[114:115], s[30:31], v[90:91]
	v_fma_f64 v[120:121], v[147:148], s[30:31], -v[102:103]
	v_fma_f64 v[126:127], v[114:115], s[26:27], v[124:125]
	v_add_f64 v[0:1], v[16:17], v[0:1]
	v_add_f64 v[2:3], v[18:19], v[2:3]
	;; [unrolled: 1-line block ×4, first 2 shown]
	v_add_f64 v[70:71], v[36:37], -v[24:25]
	v_fma_f64 v[139:140], v[147:148], s[26:27], -v[132:133]
	s_mov_b32 s20, 0xd0032e0c
	s_mov_b32 s23, 0xbfe5384d
	;; [unrolled: 1-line block ×6, first 2 shown]
	v_add_f64 v[141:142], v[38:39], v[26:27]
	v_add_f64 v[116:117], v[34:35], -v[30:31]
	v_mul_f64 v[118:119], v[100:101], s[36:37]
	s_mov_b32 s39, 0x3fddbe06
	v_fma_f64 v[158:159], v[134:135], s[24:25], -v[98:99]
	v_fma_f64 v[160:161], v[76:77], s[20:21], v[104:105]
	v_fma_f64 v[162:163], v[134:135], s[20:21], -v[130:131]
	s_mov_b32 s38, s4
	v_add_f64 v[145:146], v[34:35], v[30:31]
	v_mul_lo_u16 v212, v209, 13
	v_add_f64 v[0:1], v[78:79], v[0:1]
	v_add_f64 v[2:3], v[82:83], v[2:3]
	;; [unrolled: 1-line block ×5, first 2 shown]
	v_add_f64 v[72:73], v[32:33], -v[28:29]
	v_mul_f64 v[106:107], v[100:101], s[22:23]
	v_mul_f64 v[110:111], v[70:71], s[22:23]
	;; [unrolled: 1-line block ×3, first 2 shown]
	v_fma_f64 v[86:87], v[76:77], s[24:25], v[96:97]
	s_barrier
	buffer_gl0_inv
	v_add_f64 v[0:1], v[112:113], v[0:1]
	v_add_f64 v[2:3], v[120:121], v[2:3]
	;; [unrolled: 1-line block ×5, first 2 shown]
	v_mul_f64 v[112:113], v[116:117], s[34:35]
	v_mul_f64 v[120:121], v[72:73], s[34:35]
	;; [unrolled: 1-line block ×4, first 2 shown]
	v_fma_f64 v[166:167], v[78:79], s[20:21], v[106:107]
	v_fma_f64 v[168:169], v[141:142], s[20:21], -v[110:111]
	v_fma_f64 v[170:171], v[78:79], s[30:31], v[118:119]
	v_fma_f64 v[172:173], v[141:142], s[30:31], -v[137:138]
	v_add_f64 v[0:1], v[86:87], v[0:1]
	v_add_f64 v[2:3], v[158:159], v[2:3]
	;; [unrolled: 1-line block ×4, first 2 shown]
	v_fma_f64 v[158:159], v[82:83], s[26:27], v[112:113]
	v_fma_f64 v[160:161], v[145:146], s[26:27], -v[120:121]
	v_fma_f64 v[162:163], v[82:83], s[10:11], v[126:127]
	v_fma_f64 v[164:165], v[145:146], s[10:11], -v[139:140]
	v_add_f64 v[0:1], v[166:167], v[0:1]
	v_add_f64 v[2:3], v[168:169], v[2:3]
	;; [unrolled: 1-line block ×8, first 2 shown]
	s_and_saveexec_b32 s33, vcc_lo
	s_cbranch_execz .LBB0_7
; %bb.6:
	v_add_f64 v[54:55], v[18:19], v[54:55]
	v_add_f64 v[52:53], v[16:17], v[52:53]
	v_mul_f64 v[158:159], v[151:152], s[26:27]
	s_mov_b32 s41, 0x3fcea1e5
	s_mov_b32 s40, s34
	v_mul_f64 v[170:171], v[143:144], s[10:11]
	v_mul_f64 v[168:169], v[149:150], s[34:35]
	;; [unrolled: 1-line block ×13, first 2 shown]
	s_mov_b32 s43, 0x3fedeba7
	s_mov_b32 s42, s18
	v_mul_f64 v[184:185], v[108:109], s[22:23]
	v_mul_f64 v[160:161], v[60:61], s[10:11]
	v_add_f64 v[50:51], v[54:55], v[50:51]
	v_add_f64 v[48:49], v[52:53], v[48:49]
	v_fma_f64 v[52:53], v[62:63], s[40:41], v[158:159]
	v_fma_f64 v[158:159], v[62:63], s[34:35], v[158:159]
	v_mul_f64 v[54:55], v[151:152], s[30:31]
	v_fma_f64 v[204:205], v[58:59], s[4:5], v[170:171]
	v_mul_f64 v[151:152], v[56:57], s[38:39]
	v_fma_f64 v[202:203], v[60:61], s[26:27], v[168:169]
	v_fma_f64 v[168:169], v[60:61], s[26:27], -v[168:169]
	v_fma_f64 v[206:207], v[62:63], s[16:17], v[174:175]
	v_fma_f64 v[213:214], v[60:61], s[20:21], v[176:177]
	;; [unrolled: 1-line block ×5, first 2 shown]
	v_mul_f64 v[164:165], v[60:61], s[8:9]
	v_mul_f64 v[190:191], v[108:109], s[6:7]
	v_fma_f64 v[178:179], v[88:89], s[22:23], v[178:179]
	v_fma_f64 v[229:230], v[74:75], s[30:31], v[192:193]
	;; [unrolled: 1-line block ×3, first 2 shown]
	s_mov_b32 s45, 0x3fea55e2
	s_mov_b32 s44, s6
	v_mul_f64 v[194:195], v[143:144], s[20:21]
	v_add_f64 v[46:47], v[50:51], v[46:47]
	v_add_f64 v[44:45], v[48:49], v[44:45]
	v_add_f64 v[48:49], v[18:19], v[52:53]
	v_add_f64 v[158:159], v[18:19], v[158:159]
	v_mul_f64 v[221:222], v[92:93], s[44:45]
	v_fma_f64 v[227:228], v[58:59], s[28:29], v[188:189]
	v_fma_f64 v[225:226], v[74:75], s[10:11], v[151:152]
	v_fma_f64 v[151:152], v[74:75], s[10:11], -v[151:152]
	v_add_f64 v[168:169], v[16:17], v[168:169]
	v_add_f64 v[202:203], v[16:17], v[202:203]
	;; [unrolled: 1-line block ×4, first 2 shown]
	v_fma_f64 v[233:234], v[114:115], s[20:21], v[184:185]
	v_fma_f64 v[184:185], v[114:115], s[20:21], -v[184:185]
	v_mul_f64 v[186:187], v[147:148], s[8:9]
	v_mul_f64 v[196:197], v[141:142], s[24:25]
	;; [unrolled: 1-line block ×4, first 2 shown]
	v_fma_f64 v[237:238], v[114:115], s[8:9], v[190:191]
	v_fma_f64 v[172:173], v[68:69], s[44:45], v[172:173]
	v_mul_f64 v[200:201], v[100:101], s[18:19]
	v_mul_f64 v[198:199], v[134:135], s[26:27]
	v_add_f64 v[42:43], v[46:47], v[42:43]
	v_add_f64 v[40:41], v[44:45], v[40:41]
	;; [unrolled: 1-line block ×3, first 2 shown]
	v_fma_f64 v[46:47], v[60:61], s[20:21], -v[176:177]
	v_fma_f64 v[48:49], v[62:63], s[42:43], v[180:181]
	v_fma_f64 v[176:177], v[60:61], s[24:25], v[182:183]
	;; [unrolled: 1-line block ×3, first 2 shown]
	v_fma_f64 v[182:183], v[60:61], s[24:25], -v[182:183]
	v_fma_f64 v[204:205], v[62:63], s[36:37], v[54:55]
	v_fma_f64 v[54:55], v[62:63], s[28:29], v[54:55]
	;; [unrolled: 1-line block ×3, first 2 shown]
	v_add_f64 v[158:159], v[170:171], v[158:159]
	v_fma_f64 v[60:61], v[60:61], s[30:31], -v[149:150]
	v_fma_f64 v[149:150], v[74:75], s[30:31], -v[192:193]
	v_add_f64 v[151:152], v[151:152], v[168:169]
	v_add_f64 v[202:203], v[225:226], v[202:203]
	;; [unrolled: 1-line block ×4, first 2 shown]
	v_fma_f64 v[206:207], v[76:77], s[8:9], -v[221:222]
	v_mul_f64 v[50:51], v[147:148], s[10:11]
	v_mul_f64 v[219:220], v[108:109], s[38:39]
	v_fma_f64 v[235:236], v[88:89], s[44:45], v[186:187]
	v_add_f64 v[38:39], v[42:43], v[38:39]
	v_add_f64 v[36:37], v[40:41], v[36:37]
	;; [unrolled: 1-line block ×3, first 2 shown]
	v_fma_f64 v[42:43], v[58:59], s[36:37], v[188:189]
	v_add_f64 v[44:45], v[18:19], v[174:175]
	v_add_f64 v[46:47], v[16:17], v[46:47]
	;; [unrolled: 1-line block ×3, first 2 shown]
	v_fma_f64 v[166:167], v[58:59], s[22:23], v[194:195]
	v_fma_f64 v[188:189], v[70:71], s[42:43], v[196:197]
	;; [unrolled: 1-line block ×4, first 2 shown]
	v_add_f64 v[158:159], v[178:179], v[158:159]
	v_add_f64 v[48:49], v[18:19], v[48:49]
	;; [unrolled: 1-line block ×6, first 2 shown]
	v_fma_f64 v[162:163], v[74:75], s[20:21], v[52:53]
	v_add_f64 v[176:177], v[16:17], v[176:177]
	v_mul_f64 v[215:216], v[74:75], s[8:9]
	v_mul_f64 v[217:218], v[134:135], s[30:31]
	v_fma_f64 v[174:175], v[68:69], s[34:35], v[198:199]
	v_add_f64 v[34:35], v[38:39], v[34:35]
	v_add_f64 v[32:33], v[36:37], v[32:33]
	;; [unrolled: 1-line block ×3, first 2 shown]
	v_fma_f64 v[38:39], v[88:89], s[6:7], v[186:187]
	v_add_f64 v[40:41], v[42:43], v[44:45]
	v_fma_f64 v[44:45], v[114:115], s[8:9], -v[190:191]
	v_add_f64 v[46:47], v[149:150], v[46:47]
	v_add_f64 v[42:43], v[164:165], -v[153:154]
	v_fma_f64 v[164:165], v[58:59], s[16:17], v[194:195]
	v_add_f64 v[168:169], v[235:236], v[168:169]
	v_add_f64 v[64:65], v[160:161], -v[64:65]
	v_add_f64 v[158:159], v[172:173], v[158:159]
	v_fma_f64 v[172:173], v[76:77], s[26:27], -v[223:224]
	v_fma_f64 v[149:150], v[78:79], s[24:25], v[200:201]
	v_add_f64 v[151:152], v[206:207], v[151:152]
	v_fma_f64 v[160:161], v[88:89], s[4:5], v[50:51]
	v_add_f64 v[48:49], v[166:167], v[48:49]
	v_add_f64 v[166:167], v[192:193], v[202:203]
	;; [unrolled: 1-line block ×4, first 2 shown]
	v_fma_f64 v[176:177], v[114:115], s[10:11], v[219:220]
	v_fma_f64 v[50:51], v[88:89], s[38:39], v[50:51]
	v_add_f64 v[30:31], v[34:35], v[30:31]
	v_add_f64 v[28:29], v[32:33], v[28:29]
	;; [unrolled: 1-line block ×3, first 2 shown]
	v_fma_f64 v[180:181], v[78:79], s[24:25], -v[200:201]
	v_add_f64 v[32:33], v[188:189], v[36:37]
	v_add_f64 v[36:37], v[38:39], v[40:41]
	;; [unrolled: 1-line block ×3, first 2 shown]
	v_mul_f64 v[46:47], v[100:101], s[38:39]
	v_mul_f64 v[38:39], v[141:142], s[10:11]
	v_fma_f64 v[40:41], v[68:69], s[40:41], v[198:199]
	v_mul_f64 v[56:57], v[56:57], s[34:35]
	v_add_f64 v[155:156], v[18:19], v[155:156]
	v_fma_f64 v[153:154], v[70:71], s[18:19], v[196:197]
	v_add_f64 v[168:169], v[174:175], v[168:169]
	v_add_f64 v[174:175], v[16:17], v[182:183]
	;; [unrolled: 1-line block ×12, first 2 shown]
	v_mul_f64 v[164:165], v[143:144], s[8:9]
	v_mul_f64 v[28:29], v[143:144], s[26:27]
	;; [unrolled: 1-line block ×3, first 2 shown]
	v_add_f64 v[44:45], v[172:173], v[44:45]
	v_fma_f64 v[172:173], v[78:79], s[10:11], v[46:47]
	v_mul_f64 v[30:31], v[74:75], s[24:25]
	v_add_f64 v[151:152], v[180:181], v[151:152]
	v_mul_f64 v[180:181], v[147:148], s[26:27]
	v_mul_f64 v[64:65], v[141:142], s[26:27]
	v_fma_f64 v[66:67], v[68:69], s[36:37], v[217:218]
	v_add_f64 v[48:49], v[160:161], v[48:49]
	v_mul_f64 v[160:161], v[92:93], s[28:29]
	v_add_f64 v[36:37], v[40:41], v[36:37]
	v_fma_f64 v[40:41], v[70:71], s[4:5], v[38:39]
	v_fma_f64 v[38:39], v[70:71], s[38:39], v[38:39]
	v_add_f64 v[149:150], v[149:150], v[166:167]
	v_mul_f64 v[166:167], v[114:115], s[30:31]
	v_add_f64 v[162:163], v[176:177], v[162:163]
	v_mul_f64 v[176:177], v[147:148], s[30:31]
	v_mul_f64 v[147:148], v[147:148], s[24:25]
	v_add_f64 v[80:81], v[215:216], -v[80:81]
	v_fma_f64 v[46:47], v[78:79], s[10:11], -v[46:47]
	v_add_f64 v[94:95], v[94:95], v[164:165]
	v_add_f64 v[34:35], v[50:51], v[34:35]
	;; [unrolled: 1-line block ×3, first 2 shown]
	v_mul_f64 v[50:51], v[114:115], s[26:27]
	v_add_f64 v[170:171], v[172:173], v[170:171]
	v_fma_f64 v[172:173], v[58:59], s[40:41], v[28:29]
	v_fma_f64 v[28:29], v[58:59], s[34:35], v[28:29]
	v_add_f64 v[30:31], v[30:31], -v[122:123]
	v_mul_f64 v[108:109], v[108:109], s[42:43]
	v_fma_f64 v[186:187], v[74:75], s[26:27], v[56:57]
	v_fma_f64 v[56:57], v[74:75], s[26:27], -v[56:57]
	v_fma_f64 v[52:53], v[74:75], s[20:21], -v[52:53]
	v_mul_f64 v[58:59], v[134:135], s[20:21]
	v_add_f64 v[132:133], v[132:133], v[180:181]
	v_add_f64 v[153:154], v[153:154], v[158:159]
	v_fma_f64 v[158:159], v[70:71], s[34:35], v[64:65]
	v_add_f64 v[48:49], v[66:67], v[48:49]
	v_fma_f64 v[66:67], v[76:77], s[30:31], v[160:161]
	v_add_f64 v[40:41], v[40:41], v[168:169]
	v_mul_f64 v[168:169], v[76:77], s[24:25]
	v_add_f64 v[36:37], v[38:39], v[36:37]
	v_mul_f64 v[38:39], v[134:135], s[24:25]
	;; [unrolled: 2-line block ×3, first 2 shown]
	v_add_f64 v[128:129], v[128:129], v[155:156]
	v_add_f64 v[18:19], v[94:95], v[18:19]
	v_add_f64 v[90:91], v[166:167], -v[90:91]
	v_add_f64 v[172:173], v[172:173], v[178:179]
	v_fma_f64 v[178:179], v[88:89], s[18:19], v[147:148]
	v_fma_f64 v[88:89], v[88:89], s[42:43], v[147:148]
	v_add_f64 v[28:29], v[28:29], v[54:55]
	v_add_f64 v[16:17], v[80:81], v[16:17]
	v_fma_f64 v[182:183], v[68:69], s[28:29], v[217:218]
	v_add_f64 v[44:45], v[46:47], v[44:45]
	v_mul_f64 v[46:47], v[76:77], s[20:21]
	v_add_f64 v[50:51], v[50:51], -v[124:125]
	v_add_f64 v[30:31], v[30:31], v[42:43]
	v_fma_f64 v[54:55], v[114:115], s[24:25], v[108:109]
	v_fma_f64 v[108:109], v[114:115], s[24:25], -v[108:109]
	v_mul_f64 v[92:93], v[92:93], s[38:39]
	v_add_f64 v[56:57], v[56:57], v[60:61]
	v_add_f64 v[52:53], v[52:53], v[174:175]
	v_fma_f64 v[184:185], v[114:115], s[10:11], -v[219:220]
	v_add_f64 v[62:63], v[186:187], v[62:63]
	v_mul_f64 v[143:144], v[141:142], s[30:31]
	v_add_f64 v[58:59], v[130:131], v[58:59]
	v_add_f64 v[128:129], v[132:133], v[128:129]
	;; [unrolled: 1-line block ×5, first 2 shown]
	v_mul_f64 v[158:159], v[78:79], s[20:21]
	v_add_f64 v[66:67], v[66:67], v[162:163]
	v_mul_f64 v[162:163], v[141:142], s[20:21]
	v_add_f64 v[28:29], v[88:89], v[28:29]
	v_mul_f64 v[141:142], v[141:142], s[8:9]
	v_fma_f64 v[130:131], v[68:69], s[38:39], v[134:135]
	v_add_f64 v[38:39], v[98:99], v[38:39]
	v_add_f64 v[18:19], v[102:103], v[18:19]
	v_add_f64 v[96:97], v[168:169], -v[96:97]
	v_add_f64 v[16:17], v[90:91], v[16:17]
	v_add_f64 v[34:35], v[182:183], v[34:35]
	v_mul_f64 v[182:183], v[78:79], s[30:31]
	v_add_f64 v[46:47], v[46:47], -v[104:105]
	v_add_f64 v[24:25], v[50:51], v[30:31]
	v_mul_f64 v[124:125], v[100:101], s[40:41]
	v_mul_f64 v[100:101], v[100:101], s[6:7]
	v_fma_f64 v[132:133], v[76:77], s[10:11], -v[92:93]
	v_add_f64 v[26:27], v[108:109], v[56:57]
	v_fma_f64 v[160:161], v[76:77], s[30:31], -v[160:161]
	v_add_f64 v[30:31], v[184:185], v[52:53]
	v_fma_f64 v[64:65], v[70:71], s[40:41], v[64:65]
	v_fma_f64 v[56:57], v[68:69], s[4:5], v[134:135]
	v_add_f64 v[68:69], v[178:179], v[172:173]
	v_fma_f64 v[76:77], v[76:77], s[10:11], v[92:93]
	v_add_f64 v[54:55], v[54:55], v[62:63]
	v_add_f64 v[98:99], v[137:138], v[143:144]
	;; [unrolled: 1-line block ×5, first 2 shown]
	v_mul_f64 v[174:175], v[82:83], s[26:27]
	v_mul_f64 v[164:165], v[145:146], s[24:25]
	;; [unrolled: 1-line block ×3, first 2 shown]
	v_fma_f64 v[90:91], v[70:71], s[6:7], v[141:142]
	v_add_f64 v[28:29], v[130:131], v[28:29]
	v_add_f64 v[104:105], v[110:111], v[162:163]
	;; [unrolled: 1-line block ×3, first 2 shown]
	v_add_f64 v[38:39], v[158:159], -v[106:107]
	v_add_f64 v[16:17], v[96:97], v[16:17]
	v_mul_f64 v[122:123], v[145:146], s[30:31]
	v_mul_f64 v[155:156], v[82:83], s[10:11]
	;; [unrolled: 1-line block ×3, first 2 shown]
	v_add_f64 v[102:103], v[182:183], -v[118:119]
	v_add_f64 v[20:21], v[46:47], v[24:25]
	v_mul_f64 v[180:181], v[145:146], s[8:9]
	v_mul_f64 v[52:53], v[145:146], s[20:21]
	;; [unrolled: 1-line block ×3, first 2 shown]
	v_fma_f64 v[92:93], v[78:79], s[8:9], -v[100:101]
	v_add_f64 v[22:23], v[132:133], v[26:27]
	v_mul_f64 v[186:187], v[116:117], s[44:45]
	v_fma_f64 v[50:51], v[78:79], s[26:27], -v[124:125]
	v_add_f64 v[24:25], v[160:161], v[30:31]
	v_mul_f64 v[114:115], v[116:117], s[18:19]
	v_mul_f64 v[147:148], v[116:117], s[36:37]
	v_fma_f64 v[88:89], v[78:79], s[26:27], v[124:125]
	v_add_f64 v[30:31], v[64:65], v[34:35]
	v_fma_f64 v[34:35], v[70:71], s[44:45], v[141:142]
	v_add_f64 v[46:47], v[56:57], v[68:69]
	;; [unrolled: 2-line block ×3, first 2 shown]
	v_add_f64 v[58:59], v[98:99], v[58:59]
	v_add_f64 v[96:97], v[14:15], v[10:11]
	;; [unrolled: 1-line block ×3, first 2 shown]
	v_fma_f64 v[166:167], v[72:73], s[42:43], v[164:165]
	v_fma_f64 v[164:165], v[72:73], s[18:19], v[164:165]
	v_add_f64 v[28:29], v[90:91], v[28:29]
	v_add_f64 v[74:75], v[120:121], v[74:75]
	;; [unrolled: 1-line block ×3, first 2 shown]
	v_add_f64 v[90:91], v[174:175], -v[112:113]
	v_add_f64 v[16:17], v[38:39], v[16:17]
	v_fma_f64 v[176:177], v[72:73], s[28:29], v[122:123]
	v_add_f64 v[42:43], v[139:140], v[42:43]
	v_add_f64 v[76:77], v[155:156], -v[126:127]
	v_add_f64 v[20:21], v[102:103], v[20:21]
	v_fma_f64 v[26:27], v[72:73], s[44:45], v[180:181]
	v_fma_f64 v[68:69], v[72:73], s[22:23], v[52:53]
	v_fma_f64 v[70:71], v[82:83], s[20:21], -v[62:63]
	v_add_f64 v[92:93], v[92:93], v[22:23]
	v_fma_f64 v[64:65], v[82:83], s[8:9], -v[186:187]
	v_add_f64 v[24:25], v[50:51], v[24:25]
	v_fma_f64 v[80:81], v[82:83], s[24:25], v[114:115]
	v_fma_f64 v[114:115], v[82:83], s[24:25], -v[114:115]
	v_fma_f64 v[94:95], v[82:83], s[30:31], v[147:148]
	v_fma_f64 v[122:123], v[72:73], s[36:37], v[122:123]
	v_fma_f64 v[147:148], v[82:83], s[30:31], -v[147:148]
	v_fma_f64 v[60:61], v[72:73], s[6:7], v[180:181]
	v_fma_f64 v[50:51], v[82:83], s[8:9], v[186:187]
	v_add_f64 v[66:67], v[88:89], v[66:67]
	v_fma_f64 v[52:53], v[72:73], s[16:17], v[52:53]
	v_add_f64 v[46:47], v[34:35], v[46:47]
	v_fma_f64 v[62:63], v[82:83], s[20:21], v[62:63]
	v_add_f64 v[54:55], v[56:57], v[54:55]
	v_add_f64 v[6:7], v[96:97], v[6:7]
	v_add_f64 v[4:5], v[98:99], v[4:5]
	;; [unrolled: 1-line block ×22, first 2 shown]
	v_and_b32_e32 v48, 0xffff, v212
	v_add_lshl_u32 v48, v157, v48, 4
	ds_write_b128 v48, v[4:7]
	ds_write_b128 v48, v[36:39] offset:16
	ds_write_b128 v48, v[32:35] offset:32
	;; [unrolled: 1-line block ×12, first 2 shown]
.LBB0_7:
	s_or_b32 exec_lo, exec_lo, s33
	v_and_b32_e32 v4, 0xff, v209
	v_mov_b32_e32 v5, 10
	s_load_dwordx4 s[4:7], s[0:1], 0x0
	s_waitcnt lgkmcnt(0)
	s_barrier
	v_mul_lo_u16 v4, 0x4f, v4
	buffer_gl0_inv
	v_add_lshl_u32 v213, v157, v209, 4
	s_mov_b32 s18, 0x43842ef
	s_mov_b32 s19, 0xbfefac9e
	v_lshrrev_b16 v142, 10, v4
	s_mov_b32 s26, 0xf8bb580b
	s_mov_b32 s0, 0x640f44db
	;; [unrolled: 1-line block ×4, first 2 shown]
	v_mul_lo_u16 v4, v142, 13
	s_mov_b32 s27, 0xbfe14ced
	s_mov_b32 s21, 0xbfed1bb4
	;; [unrolled: 1-line block ×4, first 2 shown]
	v_sub_nc_u16 v141, v209, v4
	s_mov_b32 s23, 0xbfe82f19
	s_mov_b32 s29, 0xbfd207e7
	;; [unrolled: 1-line block ×4, first 2 shown]
	v_mul_u32_u24_sdwa v4, v141, v5 dst_sel:DWORD dst_unused:UNUSED_PAD src0_sel:BYTE_0 src1_sel:DWORD
	s_mov_b32 s16, 0x7f775887
	s_mov_b32 s24, 0x9bcd5057
	;; [unrolled: 1-line block ×4, first 2 shown]
	v_lshlrev_b32_e32 v76, 4, v4
	s_mov_b32 s17, 0xbfe4f49e
	s_mov_b32 s25, 0xbfeeb42a
	s_mov_b32 s37, 0x3fd207e7
	s_mov_b32 s36, s28
	s_clause 0x5
	global_load_dwordx4 v[24:27], v76, s[2:3]
	global_load_dwordx4 v[16:19], v76, s[2:3] offset:16
	global_load_dwordx4 v[8:11], v76, s[2:3] offset:32
	global_load_dwordx4 v[4:7], v76, s[2:3] offset:48
	global_load_dwordx4 v[12:15], v76, s[2:3] offset:64
	global_load_dwordx4 v[20:23], v76, s[2:3] offset:80
	ds_read_b128 v[28:31], v213 offset:1248
	ds_read_b128 v[32:35], v213 offset:2496
	;; [unrolled: 1-line block ×3, first 2 shown]
	ds_read_b128 v[44:47], v213
	s_mov_b32 s35, 0x3fefac9e
	s_mov_b32 s34, s18
	;; [unrolled: 1-line block ×4, first 2 shown]
	s_waitcnt vmcnt(5) lgkmcnt(3)
	v_mul_f64 v[40:41], v[30:31], v[26:27]
	v_mul_f64 v[42:43], v[28:29], v[26:27]
	s_waitcnt vmcnt(4) lgkmcnt(2)
	v_mul_f64 v[48:49], v[34:35], v[18:19]
	v_mul_f64 v[50:51], v[32:33], v[18:19]
	;; [unrolled: 3-line block ×3, first 2 shown]
	v_fma_f64 v[92:93], v[28:29], v[24:25], -v[40:41]
	v_fma_f64 v[94:95], v[30:31], v[24:25], v[42:43]
	ds_read_b128 v[28:31], v213 offset:4992
	v_fma_f64 v[48:49], v[32:33], v[16:17], -v[48:49]
	v_fma_f64 v[50:51], v[34:35], v[16:17], v[50:51]
	ds_read_b128 v[32:35], v213 offset:6240
	v_fma_f64 v[52:53], v[36:37], v[8:9], -v[52:53]
	v_fma_f64 v[54:55], v[38:39], v[8:9], v[54:55]
	s_waitcnt vmcnt(2) lgkmcnt(1)
	v_mul_f64 v[40:41], v[30:31], v[6:7]
	v_mul_f64 v[36:37], v[28:29], v[6:7]
	s_waitcnt vmcnt(1) lgkmcnt(0)
	v_mul_f64 v[38:39], v[34:35], v[14:15]
	v_fma_f64 v[56:57], v[28:29], v[4:5], -v[40:41]
	v_mul_f64 v[28:29], v[32:33], v[14:15]
	v_fma_f64 v[58:59], v[30:31], v[4:5], v[36:37]
	v_fma_f64 v[60:61], v[32:33], v[12:13], -v[38:39]
	v_fma_f64 v[62:63], v[34:35], v[12:13], v[28:29]
	ds_read_b128 v[28:31], v213 offset:7488
	ds_read_b128 v[36:39], v213 offset:8736
	s_waitcnt vmcnt(0) lgkmcnt(1)
	v_mul_f64 v[32:33], v[30:31], v[22:23]
	v_fma_f64 v[64:65], v[28:29], v[20:21], -v[32:33]
	v_mul_f64 v[28:29], v[28:29], v[22:23]
	v_add_f64 v[170:171], v[60:61], v[64:65]
	v_fma_f64 v[66:67], v[30:31], v[20:21], v[28:29]
	s_clause 0x1
	global_load_dwordx4 v[28:31], v76, s[2:3] offset:96
	global_load_dwordx4 v[32:35], v76, s[2:3] offset:112
	v_add_f64 v[176:177], v[62:63], v[66:67]
	s_waitcnt vmcnt(1) lgkmcnt(0)
	v_mul_f64 v[40:41], v[38:39], v[30:31]
	v_fma_f64 v[68:69], v[36:37], v[28:29], -v[40:41]
	v_mul_f64 v[36:37], v[36:37], v[30:31]
	v_add_f64 v[164:165], v[56:57], -v[68:69]
	v_fma_f64 v[70:71], v[38:39], v[28:29], v[36:37]
	ds_read_b128 v[36:39], v213 offset:9984
	ds_read_b128 v[78:81], v213 offset:11232
	s_waitcnt vmcnt(0) lgkmcnt(1)
	v_mul_f64 v[40:41], v[38:39], v[34:35]
	v_mul_f64 v[166:167], v[164:165], s[22:23]
	v_add_f64 v[160:161], v[58:59], -v[70:71]
	v_fma_f64 v[72:73], v[36:37], v[32:33], -v[40:41]
	v_mul_f64 v[36:37], v[36:37], v[34:35]
	v_mul_f64 v[162:163], v[160:161], s[22:23]
	v_add_f64 v[155:156], v[52:53], -v[72:73]
	v_fma_f64 v[74:75], v[38:39], v[32:33], v[36:37]
	s_clause 0x1
	global_load_dwordx4 v[36:39], v76, s[2:3] offset:128
	global_load_dwordx4 v[40:43], v76, s[2:3] offset:144
	ds_read_b128 v[88:91], v213 offset:12480
	s_waitcnt vmcnt(0) lgkmcnt(0)
	s_barrier
	buffer_gl0_inv
	v_mul_f64 v[158:159], v[155:156], s[18:19]
	v_add_f64 v[153:154], v[54:55], -v[74:75]
	v_mul_f64 v[76:77], v[80:81], v[38:39]
	v_mul_f64 v[82:83], v[90:91], v[42:43]
	v_fma_f64 v[76:77], v[78:79], v[36:37], -v[76:77]
	v_mul_f64 v[78:79], v[78:79], v[38:39]
	v_fma_f64 v[82:83], v[88:89], v[40:41], -v[82:83]
	v_fma_f64 v[78:79], v[80:81], v[36:37], v[78:79]
	v_mul_f64 v[80:81], v[88:89], v[42:43]
	v_add_f64 v[102:103], v[92:93], v[82:83]
	v_fma_f64 v[80:81], v[90:91], v[40:41], v[80:81]
	v_add_f64 v[88:89], v[94:95], -v[80:81]
	v_add_f64 v[122:123], v[94:95], v[80:81]
	v_mul_f64 v[98:99], v[88:89], s[18:19]
	v_mul_f64 v[90:91], v[88:89], s[26:27]
	;; [unrolled: 1-line block ×5, first 2 shown]
	v_fma_f64 v[112:113], v[102:103], s[0:1], -v[98:99]
	v_fma_f64 v[114:115], v[102:103], s[0:1], v[98:99]
	v_add_f64 v[98:99], v[92:93], -v[82:83]
	v_fma_f64 v[104:105], v[102:103], s[10:11], -v[90:91]
	v_fma_f64 v[90:91], v[102:103], s[10:11], v[90:91]
	v_fma_f64 v[106:107], v[102:103], s[8:9], -v[96:97]
	v_fma_f64 v[96:97], v[102:103], s[8:9], v[96:97]
	;; [unrolled: 2-line block ×4, first 2 shown]
	v_add_f64 v[134:135], v[44:45], v[112:113]
	v_add_f64 v[112:113], v[48:49], v[76:77]
	v_mul_f64 v[102:103], v[98:99], s[26:27]
	v_mul_f64 v[108:109], v[98:99], s[20:21]
	;; [unrolled: 1-line block ×5, first 2 shown]
	v_add_f64 v[149:150], v[44:45], v[106:107]
	v_add_f64 v[145:146], v[44:45], v[104:105]
	;; [unrolled: 1-line block ×5, first 2 shown]
	v_fma_f64 v[124:125], v[122:123], s[10:11], v[102:103]
	v_fma_f64 v[102:103], v[122:123], s[10:11], -v[102:103]
	v_fma_f64 v[126:127], v[122:123], s[8:9], v[108:109]
	v_fma_f64 v[128:129], v[122:123], s[8:9], -v[108:109]
	;; [unrolled: 2-line block ×5, first 2 shown]
	v_add_f64 v[110:111], v[46:47], v[94:95]
	v_add_f64 v[94:95], v[44:45], v[114:115]
	;; [unrolled: 1-line block ×13, first 2 shown]
	v_add_f64 v[120:121], v[50:51], -v[78:79]
	v_add_f64 v[106:107], v[46:47], v[122:123]
	v_add_f64 v[122:123], v[48:49], -v[76:77]
	v_add_f64 v[116:117], v[46:47], v[143:144]
	v_add_f64 v[92:93], v[46:47], v[137:138]
	;; [unrolled: 1-line block ×5, first 2 shown]
	v_mul_f64 v[88:89], v[120:121], s[20:21]
	v_mul_f64 v[143:144], v[122:123], s[20:21]
	s_mov_b32 s21, 0x3fed1bb4
	v_add_f64 v[48:49], v[48:49], v[52:53]
	v_add_f64 v[50:51], v[50:51], v[54:55]
	v_fma_f64 v[44:45], v[112:113], s[8:9], -v[88:89]
	v_fma_f64 v[88:89], v[112:113], s[8:9], v[88:89]
	v_fma_f64 v[46:47], v[114:115], s[8:9], v[143:144]
	v_add_f64 v[48:49], v[48:49], v[56:57]
	v_add_f64 v[50:51], v[50:51], v[58:59]
	;; [unrolled: 1-line block ×3, first 2 shown]
	v_mul_f64 v[145:146], v[153:154], s[18:19]
	v_add_f64 v[46:47], v[46:47], v[124:125]
	v_add_f64 v[124:125], v[52:53], v[72:73]
	;; [unrolled: 1-line block ×3, first 2 shown]
	v_fma_f64 v[90:91], v[114:115], s[8:9], -v[143:144]
	v_add_f64 v[48:49], v[48:49], v[60:61]
	v_add_f64 v[50:51], v[50:51], v[62:63]
	v_mov_b32_e32 v52, 0x8f
	v_mul_u32_u24_sdwa v52, v142, v52 dst_sel:DWORD dst_unused:UNUSED_PAD src0_sel:WORD_0 src1_sel:DWORD
	v_add_nc_u32_sdwa v52, v52, v141 dst_sel:DWORD dst_unused:UNUSED_PAD src0_sel:DWORD src1_sel:BYTE_0
	v_add_lshl_u32 v215, v157, v52, 4
	v_fma_f64 v[126:127], v[124:125], s[0:1], -v[145:146]
	v_fma_f64 v[143:144], v[124:125], s[0:1], v[145:146]
	v_add_f64 v[90:91], v[90:91], v[147:148]
	v_mul_f64 v[147:148], v[120:121], s[22:23]
	v_add_f64 v[48:49], v[48:49], v[64:65]
	v_add_f64 v[50:51], v[50:51], v[66:67]
	;; [unrolled: 1-line block ×7, first 2 shown]
	v_fma_f64 v[137:138], v[126:127], s[0:1], v[158:159]
	v_fma_f64 v[143:144], v[126:127], s[0:1], -v[158:159]
	v_add_f64 v[48:49], v[48:49], v[72:73]
	v_add_f64 v[50:51], v[50:51], v[74:75]
	v_add_f64 v[46:47], v[137:138], v[46:47]
	v_add_f64 v[137:138], v[56:57], v[68:69]
	v_add_f64 v[90:91], v[143:144], v[90:91]
	v_add_f64 v[48:49], v[48:49], v[76:77]
	v_add_f64 v[50:51], v[50:51], v[78:79]
	v_fma_f64 v[139:140], v[137:138], s[16:17], -v[162:163]
	v_fma_f64 v[143:144], v[137:138], s[16:17], v[162:163]
	v_add_f64 v[48:49], v[48:49], v[82:83]
	v_add_f64 v[50:51], v[50:51], v[80:81]
	;; [unrolled: 1-line block ×5, first 2 shown]
	v_fma_f64 v[168:169], v[139:140], s[16:17], v[166:167]
	v_fma_f64 v[143:144], v[139:140], s[16:17], -v[166:167]
	v_add_f64 v[46:47], v[168:169], v[46:47]
	v_add_f64 v[168:169], v[62:63], -v[66:67]
	v_add_f64 v[90:91], v[143:144], v[90:91]
	v_mul_f64 v[172:173], v[168:169], s[28:29]
	v_fma_f64 v[174:175], v[170:171], s[24:25], -v[172:173]
	v_fma_f64 v[143:144], v[170:171], s[24:25], v[172:173]
	v_add_f64 v[44:45], v[174:175], v[44:45]
	v_add_f64 v[174:175], v[60:61], -v[64:65]
	v_add_f64 v[88:89], v[143:144], v[88:89]
	v_fma_f64 v[143:144], v[112:113], s[16:17], -v[147:148]
	v_fma_f64 v[147:148], v[112:113], s[16:17], v[147:148]
	v_mul_f64 v[178:179], v[174:175], s[28:29]
	v_add_f64 v[143:144], v[143:144], v[149:150]
	v_mul_f64 v[149:150], v[122:123], s[22:23]
	v_add_f64 v[98:99], v[147:148], v[98:99]
	v_fma_f64 v[145:146], v[176:177], s[24:25], -v[178:179]
	v_fma_f64 v[180:181], v[176:177], s[24:25], v[178:179]
	v_fma_f64 v[147:148], v[114:115], s[16:17], -v[149:150]
	v_add_f64 v[90:91], v[145:146], v[90:91]
	v_fma_f64 v[145:146], v[114:115], s[16:17], v[149:150]
	v_add_f64 v[46:47], v[180:181], v[46:47]
	v_add_f64 v[96:97], v[147:148], v[96:97]
	;; [unrolled: 1-line block ×3, first 2 shown]
	v_mul_f64 v[151:152], v[153:154], s[36:37]
	v_fma_f64 v[158:159], v[124:125], s[24:25], -v[151:152]
	v_fma_f64 v[147:148], v[124:125], s[24:25], v[151:152]
	v_add_f64 v[143:144], v[158:159], v[143:144]
	v_mul_f64 v[158:159], v[155:156], s[36:37]
	v_add_f64 v[98:99], v[147:148], v[98:99]
	v_fma_f64 v[162:163], v[126:127], s[24:25], v[158:159]
	v_fma_f64 v[147:148], v[126:127], s[24:25], -v[158:159]
	v_add_f64 v[145:146], v[162:163], v[145:146]
	v_mul_f64 v[162:163], v[160:161], s[34:35]
	v_add_f64 v[96:97], v[147:148], v[96:97]
	v_fma_f64 v[166:167], v[137:138], s[0:1], -v[162:163]
	v_fma_f64 v[147:148], v[137:138], s[0:1], v[162:163]
	v_add_f64 v[143:144], v[166:167], v[143:144]
	v_mul_f64 v[166:167], v[164:165], s[34:35]
	v_add_f64 v[98:99], v[147:148], v[98:99]
	v_fma_f64 v[172:173], v[139:140], s[0:1], v[166:167]
	v_fma_f64 v[147:148], v[139:140], s[0:1], -v[166:167]
	v_add_f64 v[145:146], v[172:173], v[145:146]
	v_mul_f64 v[172:173], v[168:169], s[30:31]
	v_add_f64 v[147:148], v[147:148], v[96:97]
	v_fma_f64 v[178:179], v[170:171], s[10:11], -v[172:173]
	v_fma_f64 v[96:97], v[170:171], s[10:11], v[172:173]
	v_add_f64 v[143:144], v[178:179], v[143:144]
	v_mul_f64 v[178:179], v[174:175], s[30:31]
	v_add_f64 v[96:97], v[96:97], v[98:99]
	v_fma_f64 v[149:150], v[176:177], s[10:11], -v[178:179]
	v_fma_f64 v[180:181], v[176:177], s[10:11], v[178:179]
	v_mul_f64 v[178:179], v[168:169], s[22:23]
	v_add_f64 v[98:99], v[149:150], v[147:148]
	v_mul_f64 v[147:148], v[120:121], s[36:37]
	v_add_f64 v[145:146], v[180:181], v[145:146]
	v_mul_f64 v[180:181], v[174:175], s[22:23]
	v_fma_f64 v[149:150], v[112:113], s[24:25], -v[147:148]
	v_fma_f64 v[147:148], v[112:113], s[24:25], v[147:148]
	v_add_f64 v[134:135], v[149:150], v[134:135]
	v_mul_f64 v[149:150], v[122:123], s[36:37]
	v_add_f64 v[94:95], v[147:148], v[94:95]
	v_fma_f64 v[151:152], v[114:115], s[24:25], v[149:150]
	v_fma_f64 v[147:148], v[114:115], s[24:25], -v[149:150]
	v_fma_f64 v[149:150], v[176:177], s[16:17], -v[180:181]
	v_add_f64 v[132:133], v[151:152], v[132:133]
	v_mul_f64 v[151:152], v[153:154], s[20:21]
	v_add_f64 v[92:93], v[147:148], v[92:93]
	v_fma_f64 v[158:159], v[124:125], s[8:9], -v[151:152]
	v_fma_f64 v[147:148], v[124:125], s[8:9], v[151:152]
	v_add_f64 v[134:135], v[158:159], v[134:135]
	v_mul_f64 v[158:159], v[155:156], s[20:21]
	v_add_f64 v[94:95], v[147:148], v[94:95]
	v_fma_f64 v[162:163], v[126:127], s[8:9], v[158:159]
	v_fma_f64 v[147:148], v[126:127], s[8:9], -v[158:159]
	v_add_f64 v[132:133], v[162:163], v[132:133]
	v_mul_f64 v[162:163], v[160:161], s[26:27]
	v_add_f64 v[92:93], v[147:148], v[92:93]
	v_fma_f64 v[166:167], v[137:138], s[10:11], -v[162:163]
	v_fma_f64 v[147:148], v[137:138], s[10:11], v[162:163]
	v_add_f64 v[134:135], v[166:167], v[134:135]
	v_mul_f64 v[166:167], v[164:165], s[26:27]
	v_add_f64 v[94:95], v[147:148], v[94:95]
	v_fma_f64 v[147:148], v[139:140], s[10:11], -v[166:167]
	v_fma_f64 v[172:173], v[139:140], s[10:11], v[166:167]
	v_add_f64 v[147:148], v[147:148], v[92:93]
	v_fma_f64 v[92:93], v[170:171], s[16:17], v[178:179]
	v_add_f64 v[172:173], v[172:173], v[132:133]
	v_fma_f64 v[132:133], v[170:171], s[16:17], -v[178:179]
	v_mul_f64 v[178:179], v[168:169], s[20:21]
	v_add_f64 v[92:93], v[92:93], v[94:95]
	v_add_f64 v[94:95], v[149:150], v[147:148]
	v_mul_f64 v[147:148], v[120:121], s[34:35]
	v_add_f64 v[132:133], v[132:133], v[134:135]
	v_fma_f64 v[134:135], v[176:177], s[16:17], v[180:181]
	v_mul_f64 v[180:181], v[174:175], s[20:21]
	v_mul_f64 v[120:121], v[120:121], s[30:31]
	v_fma_f64 v[149:150], v[112:113], s[0:1], -v[147:148]
	v_fma_f64 v[147:148], v[112:113], s[0:1], v[147:148]
	v_add_f64 v[134:135], v[134:135], v[172:173]
	v_add_f64 v[130:131], v[149:150], v[130:131]
	v_mul_f64 v[149:150], v[122:123], s[34:35]
	v_add_f64 v[102:103], v[147:148], v[102:103]
	v_mul_f64 v[122:123], v[122:123], s[30:31]
	v_fma_f64 v[151:152], v[114:115], s[0:1], v[149:150]
	v_fma_f64 v[147:148], v[114:115], s[0:1], -v[149:150]
	v_fma_f64 v[149:150], v[176:177], s[8:9], -v[180:181]
	v_add_f64 v[128:129], v[151:152], v[128:129]
	v_mul_f64 v[151:152], v[153:154], s[26:27]
	v_add_f64 v[100:101], v[147:148], v[100:101]
	v_fma_f64 v[158:159], v[124:125], s[10:11], -v[151:152]
	v_fma_f64 v[147:148], v[124:125], s[10:11], v[151:152]
	v_add_f64 v[130:131], v[158:159], v[130:131]
	v_mul_f64 v[158:159], v[155:156], s[26:27]
	v_add_f64 v[102:103], v[147:148], v[102:103]
	v_fma_f64 v[162:163], v[126:127], s[10:11], v[158:159]
	v_fma_f64 v[147:148], v[126:127], s[10:11], -v[158:159]
	v_mul_f64 v[158:159], v[168:169], s[18:19]
	v_add_f64 v[128:129], v[162:163], v[128:129]
	v_mul_f64 v[162:163], v[160:161], s[28:29]
	v_add_f64 v[100:101], v[147:148], v[100:101]
	v_fma_f64 v[166:167], v[137:138], s[24:25], -v[162:163]
	v_fma_f64 v[147:148], v[137:138], s[24:25], v[162:163]
	v_add_f64 v[130:131], v[166:167], v[130:131]
	v_mul_f64 v[166:167], v[164:165], s[28:29]
	v_add_f64 v[102:103], v[147:148], v[102:103]
	v_fma_f64 v[147:148], v[139:140], s[24:25], -v[166:167]
	v_fma_f64 v[172:173], v[139:140], s[24:25], v[166:167]
	v_add_f64 v[147:148], v[147:148], v[100:101]
	v_fma_f64 v[100:101], v[170:171], s[8:9], v[178:179]
	v_add_f64 v[172:173], v[172:173], v[128:129]
	v_fma_f64 v[128:129], v[170:171], s[8:9], -v[178:179]
	v_add_f64 v[100:101], v[100:101], v[102:103]
	v_add_f64 v[102:103], v[149:150], v[147:148]
	v_fma_f64 v[147:148], v[112:113], s[10:11], -v[120:121]
	v_fma_f64 v[112:113], v[112:113], s[10:11], v[120:121]
	v_add_f64 v[128:129], v[128:129], v[130:131]
	v_fma_f64 v[130:131], v[176:177], s[8:9], v[180:181]
	v_add_f64 v[118:119], v[147:148], v[118:119]
	v_fma_f64 v[147:148], v[114:115], s[10:11], v[122:123]
	v_fma_f64 v[114:115], v[114:115], s[10:11], -v[122:123]
	v_add_f64 v[104:105], v[112:113], v[104:105]
	v_add_f64 v[130:131], v[130:131], v[172:173]
	;; [unrolled: 1-line block ×3, first 2 shown]
	v_mul_f64 v[147:148], v[153:154], s[22:23]
	v_add_f64 v[106:107], v[114:115], v[106:107]
	v_fma_f64 v[149:150], v[124:125], s[16:17], -v[147:148]
	v_fma_f64 v[120:121], v[124:125], s[16:17], v[147:148]
	v_add_f64 v[118:119], v[149:150], v[118:119]
	v_mul_f64 v[149:150], v[155:156], s[22:23]
	v_add_f64 v[104:105], v[120:121], v[104:105]
	v_fma_f64 v[120:121], v[170:171], s[0:1], v[158:159]
	v_fma_f64 v[151:152], v[126:127], s[16:17], v[149:150]
	v_fma_f64 v[122:123], v[126:127], s[16:17], -v[149:150]
	v_add_f64 v[116:117], v[151:152], v[116:117]
	v_mul_f64 v[151:152], v[160:161], s[20:21]
	v_mul_f64 v[160:161], v[174:175], s[18:19]
	v_add_f64 v[106:107], v[122:123], v[106:107]
	v_fma_f64 v[153:154], v[137:138], s[8:9], -v[151:152]
	v_fma_f64 v[112:113], v[137:138], s[8:9], v[151:152]
	v_fma_f64 v[122:123], v[176:177], s[0:1], -v[160:161]
	v_add_f64 v[118:119], v[153:154], v[118:119]
	v_mul_f64 v[153:154], v[164:165], s[20:21]
	v_add_f64 v[104:105], v[112:113], v[104:105]
	v_fma_f64 v[155:156], v[139:140], s[8:9], v[153:154]
	v_fma_f64 v[114:115], v[139:140], s[8:9], -v[153:154]
	v_add_f64 v[104:105], v[120:121], v[104:105]
	v_add_f64 v[155:156], v[155:156], v[116:117]
	v_fma_f64 v[116:117], v[170:171], s[0:1], -v[158:159]
	v_add_f64 v[106:107], v[114:115], v[106:107]
	v_add_f64 v[116:117], v[116:117], v[118:119]
	v_fma_f64 v[118:119], v[176:177], s[0:1], v[160:161]
	v_add_f64 v[106:107], v[122:123], v[106:107]
	v_cmp_gt_u16_e64 s0, 0x41, v209
	v_add_f64 v[118:119], v[118:119], v[155:156]
	ds_write_b128 v215, v[44:47] offset:208
	ds_write_b128 v215, v[143:146] offset:416
	;; [unrolled: 1-line block ×5, first 2 shown]
	ds_write_b128 v215, v[48:51]
	ds_write_b128 v215, v[104:107] offset:1248
	ds_write_b128 v215, v[100:103] offset:1456
	;; [unrolled: 1-line block ×5, first 2 shown]
	s_waitcnt lgkmcnt(0)
	s_barrier
	buffer_gl0_inv
	ds_read_b128 v[108:111], v213
	ds_read_b128 v[120:123], v213 offset:2288
	ds_read_b128 v[112:115], v213 offset:4576
	;; [unrolled: 1-line block ×5, first 2 shown]
	s_and_saveexec_b32 s1, s0
	s_cbranch_execz .LBB0_9
; %bb.8:
	ds_read_b128 v[104:107], v213 offset:1248
	ds_read_b128 v[100:103], v213 offset:3536
	;; [unrolled: 1-line block ×6, first 2 shown]
.LBB0_9:
	s_or_b32 exec_lo, exec_lo, s1
	v_add_nc_u32_e32 v46, 0x4e, v209
	v_add_nc_u32_e32 v47, 0xffffffbf, v209
	v_mad_u64_u32 v[44:45], null, 0x50, v209, s[2:3]
	s_mov_b32 s9, 0xbfebb67a
	v_lshl_add_u32 v214, v209, 4, v211
	v_cndmask_b32_e64 v46, v47, v46, s0
	v_add_co_u32 v48, s1, 0x820, v44
	v_mul_i32_i24_e32 v47, 0x50, v46
	v_add_co_ci_u32_e64 v49, s1, 0, v45, s1
	v_add_co_u32 v50, s1, 0x800, v44
	v_mul_hi_i32_i24_e32 v44, 0x50, v46
	v_add_co_ci_u32_e64 v51, s1, 0, v45, s1
	v_add_co_u32 v45, s1, s2, v47
	v_add_co_ci_u32_e64 v44, s1, s3, v44, s1
	s_clause 0x1
	global_load_dwordx4 v[64:67], v[48:49], off offset:32
	global_load_dwordx4 v[68:71], v[50:51], off offset:96
	v_add_co_u32 v132, s1, 0x820, v45
	v_add_co_ci_u32_e64 v133, s1, 0, v44, s1
	v_add_co_u32 v52, s1, 0x800, v45
	v_add_co_ci_u32_e64 v53, s1, 0, v44, s1
	s_clause 0x7
	global_load_dwordx4 v[44:47], v[132:133], off offset:32
	global_load_dwordx4 v[60:63], v[52:53], off offset:96
	;; [unrolled: 1-line block ×8, first 2 shown]
	s_mov_b32 s2, 0xe8584caa
	s_mov_b32 s3, 0x3febb67a
	;; [unrolled: 1-line block ×3, first 2 shown]
	s_waitcnt vmcnt(9) lgkmcnt(2)
	v_mul_f64 v[132:133], v[126:127], v[66:67]
	v_mul_f64 v[134:135], v[124:125], v[66:67]
	s_waitcnt vmcnt(8) lgkmcnt(0)
	v_mul_f64 v[137:138], v[128:129], v[70:71]
	v_mul_f64 v[139:140], v[130:131], v[70:71]
	s_waitcnt vmcnt(7)
	v_mul_f64 v[141:142], v[98:99], v[46:47]
	v_mul_f64 v[143:144], v[96:97], v[46:47]
	s_waitcnt vmcnt(6)
	v_mul_f64 v[145:146], v[84:85], v[62:63]
	v_mul_f64 v[147:148], v[86:87], v[62:63]
	s_waitcnt vmcnt(5)
	v_mul_f64 v[149:150], v[122:123], v[74:75]
	v_mul_f64 v[151:152], v[120:121], v[74:75]
	s_waitcnt vmcnt(0)
	v_mul_f64 v[153:154], v[90:91], v[50:51]
	v_mul_f64 v[155:156], v[88:89], v[50:51]
	v_fma_f64 v[124:125], v[124:125], v[64:65], -v[132:133]
	v_fma_f64 v[126:127], v[126:127], v[64:65], v[134:135]
	v_fma_f64 v[130:131], v[130:131], v[68:69], v[137:138]
	v_fma_f64 v[128:129], v[128:129], v[68:69], -v[139:140]
	v_mul_f64 v[132:133], v[102:103], v[58:59]
	v_mul_f64 v[134:135], v[100:101], v[58:59]
	v_fma_f64 v[96:97], v[96:97], v[44:45], -v[141:142]
	v_fma_f64 v[98:99], v[98:99], v[44:45], v[143:144]
	v_fma_f64 v[86:87], v[86:87], v[60:61], v[145:146]
	v_fma_f64 v[84:85], v[84:85], v[60:61], -v[147:148]
	v_mul_f64 v[137:138], v[114:115], v[82:83]
	v_mul_f64 v[139:140], v[112:113], v[82:83]
	;; [unrolled: 1-line block ×4, first 2 shown]
	v_fma_f64 v[120:121], v[120:121], v[72:73], -v[149:150]
	v_fma_f64 v[122:123], v[122:123], v[72:73], v[151:152]
	v_mul_f64 v[149:150], v[94:95], v[54:55]
	v_mul_f64 v[151:152], v[92:93], v[54:55]
	v_fma_f64 v[88:89], v[88:89], v[48:49], -v[153:154]
	v_fma_f64 v[90:91], v[90:91], v[48:49], v[155:156]
	v_add_f64 v[145:146], v[126:127], v[130:131]
	v_add_f64 v[147:148], v[124:125], v[128:129]
	v_fma_f64 v[100:101], v[100:101], v[56:57], -v[132:133]
	v_fma_f64 v[102:103], v[102:103], v[56:57], v[134:135]
	v_add_f64 v[132:133], v[98:99], v[86:87]
	v_add_f64 v[134:135], v[96:97], v[84:85]
	v_fma_f64 v[112:113], v[112:113], v[80:81], -v[137:138]
	v_fma_f64 v[114:115], v[114:115], v[80:81], v[139:140]
	v_fma_f64 v[116:117], v[116:117], v[76:77], -v[141:142]
	v_fma_f64 v[118:119], v[118:119], v[76:77], v[143:144]
	v_add_f64 v[137:138], v[126:127], -v[130:131]
	v_add_f64 v[139:140], v[124:125], -v[128:129]
	v_fma_f64 v[92:93], v[92:93], v[52:53], -v[149:150]
	v_fma_f64 v[94:95], v[94:95], v[52:53], v[151:152]
	v_fma_f64 v[141:142], v[145:146], -0.5, v[122:123]
	v_fma_f64 v[143:144], v[147:148], -0.5, v[120:121]
	v_add_f64 v[145:146], v[98:99], -v[86:87]
	v_add_f64 v[147:148], v[96:97], -v[84:85]
	v_add_f64 v[120:121], v[120:121], v[124:125]
	v_add_f64 v[122:123], v[122:123], v[126:127]
	v_fma_f64 v[132:133], v[132:133], -0.5, v[102:103]
	v_fma_f64 v[134:135], v[134:135], -0.5, v[100:101]
	v_add_f64 v[151:152], v[108:109], v[112:113]
	v_add_f64 v[96:97], v[100:101], v[96:97]
	;; [unrolled: 1-line block ×4, first 2 shown]
	v_add_f64 v[155:156], v[114:115], -v[118:119]
	v_add_f64 v[114:115], v[110:111], v[114:115]
	v_add_f64 v[112:113], v[112:113], -v[116:117]
	v_add_f64 v[124:125], v[104:105], v[92:93]
	v_add_f64 v[126:127], v[106:107], v[94:95]
	;; [unrolled: 1-line block ×3, first 2 shown]
	v_fma_f64 v[157:158], v[139:140], s[8:9], v[141:142]
	v_fma_f64 v[159:160], v[137:138], s[8:9], v[143:144]
	;; [unrolled: 1-line block ×4, first 2 shown]
	v_add_f64 v[141:142], v[92:93], v[88:89]
	v_add_f64 v[143:144], v[94:95], v[90:91]
	v_fma_f64 v[161:162], v[147:148], s[8:9], v[132:133]
	v_fma_f64 v[163:164], v[145:146], s[8:9], v[134:135]
	v_fma_f64 v[134:135], v[145:146], s[2:3], v[134:135]
	v_fma_f64 v[132:133], v[147:148], s[2:3], v[132:133]
	v_fma_f64 v[100:101], v[149:150], -0.5, v[108:109]
	v_add_f64 v[94:95], v[94:95], -v[90:91]
	v_fma_f64 v[102:103], v[153:154], -0.5, v[110:111]
	v_add_f64 v[92:93], v[92:93], -v[88:89]
	v_add_f64 v[114:115], v[114:115], v[118:119]
	v_add_f64 v[116:117], v[151:152], v[116:117]
	;; [unrolled: 1-line block ×8, first 2 shown]
	v_mul_f64 v[108:109], v[157:158], s[2:3]
	v_mul_f64 v[110:111], v[159:160], -0.5
	v_mul_f64 v[145:146], v[137:138], s[8:9]
	v_mul_f64 v[147:148], v[139:140], -0.5
	v_fma_f64 v[104:105], v[141:142], -0.5, v[104:105]
	v_fma_f64 v[106:107], v[143:144], -0.5, v[106:107]
	v_mul_f64 v[118:119], v[161:162], s[2:3]
	v_mul_f64 v[141:142], v[163:164], -0.5
	v_mul_f64 v[143:144], v[134:135], s[8:9]
	v_mul_f64 v[149:150], v[132:133], -0.5
	v_fma_f64 v[151:152], v[155:156], s[2:3], v[100:101]
	v_fma_f64 v[100:101], v[155:156], s[8:9], v[100:101]
	;; [unrolled: 1-line block ×4, first 2 shown]
	v_add_f64 v[88:89], v[116:117], v[120:121]
	v_add_f64 v[90:91], v[114:115], v[122:123]
	v_add_f64 v[120:121], v[116:117], -v[120:121]
	v_add_f64 v[122:123], v[114:115], -v[122:123]
	;; [unrolled: 1-line block ×4, first 2 shown]
	v_fma_f64 v[112:113], v[137:138], 0.5, v[108:109]
	v_fma_f64 v[137:138], v[139:140], s[2:3], v[110:111]
	v_fma_f64 v[139:140], v[157:158], 0.5, v[145:146]
	v_fma_f64 v[145:146], v[159:160], s[8:9], v[147:148]
	v_fma_f64 v[147:148], v[94:95], s[2:3], v[104:105]
	;; [unrolled: 1-line block ×5, first 2 shown]
	v_fma_f64 v[92:93], v[134:135], 0.5, v[118:119]
	v_fma_f64 v[141:142], v[132:133], s[2:3], v[141:142]
	v_fma_f64 v[143:144], v[161:162], 0.5, v[143:144]
	v_fma_f64 v[149:150], v[163:164], s[8:9], v[149:150]
	v_add_f64 v[108:109], v[124:125], v[84:85]
	v_add_f64 v[110:111], v[126:127], v[86:87]
	;; [unrolled: 1-line block ×6, first 2 shown]
	v_add_f64 v[124:125], v[151:152], -v[112:113]
	v_add_f64 v[116:117], v[100:101], -v[137:138]
	;; [unrolled: 1-line block ×4, first 2 shown]
	v_add_f64 v[112:113], v[147:148], v[92:93]
	v_add_f64 v[104:105], v[94:95], v[141:142]
	;; [unrolled: 1-line block ×4, first 2 shown]
	v_add_f64 v[100:101], v[147:148], -v[92:93]
	v_add_f64 v[92:93], v[94:95], -v[141:142]
	;; [unrolled: 1-line block ×4, first 2 shown]
	ds_write_b128 v214, v[88:91]
	ds_write_b128 v214, v[132:135] offset:2288
	ds_write_b128 v214, v[128:131] offset:4576
	;; [unrolled: 1-line block ×5, first 2 shown]
	s_and_saveexec_b32 s1, s0
	s_cbranch_execz .LBB0_11
; %bb.10:
	ds_write_b128 v214, v[108:111] offset:1248
	ds_write_b128 v214, v[112:115] offset:3536
	;; [unrolled: 1-line block ×6, first 2 shown]
.LBB0_11:
	s_or_b32 exec_lo, exec_lo, s1
	s_waitcnt lgkmcnt(0)
	s_barrier
	buffer_gl0_inv
	s_and_saveexec_b32 s2, vcc_lo
	s_cbranch_execz .LBB0_13
; %bb.12:
	v_add_co_u32 v84, s1, s14, v210
	v_add_co_ci_u32_e64 v85, null, s15, 0, s1
	v_add_co_u32 v86, s1, 0x3000, v84
	v_add_co_ci_u32_e64 v87, s1, 0, v85, s1
	global_load_dwordx4 v[137:140], v[86:87], off offset:1440
	v_add_co_u32 v86, s1, 0x35a0, v84
	v_add_co_ci_u32_e64 v87, s1, 0, v85, s1
	global_load_dwordx4 v[141:144], v[86:87], off offset:1056
	;; [unrolled: 3-line block ×3, first 2 shown]
	v_add_co_u32 v86, s1, 0x4000, v84
	v_add_co_ci_u32_e64 v87, s1, 0, v85, s1
	s_clause 0x1
	global_load_dwordx4 v[149:152], v[86:87], off offset:512
	global_load_dwordx4 v[153:156], v[86:87], off offset:1568
	v_add_co_u32 v86, s1, 0x4800, v84
	v_add_co_ci_u32_e64 v87, s1, 0, v85, s1
	s_clause 0x1
	global_load_dwordx4 v[157:160], v[86:87], off offset:576
	global_load_dwordx4 v[161:164], v[86:87], off offset:1632
	;; [unrolled: 5-line block ×3, first 2 shown]
	v_add_co_u32 v86, s1, 0x5800, v84
	v_add_co_ci_u32_e64 v87, s1, 0, v85, s1
	v_add_co_u32 v189, s1, 0x6000, v84
	v_add_co_ci_u32_e64 v190, s1, 0, v85, s1
	global_load_dwordx4 v[173:176], v[86:87], off offset:704
	ds_read_b128 v[177:180], v214
	ds_read_b128 v[181:184], v214 offset:1056
	s_waitcnt vmcnt(9) lgkmcnt(1)
	v_mul_f64 v[185:186], v[179:180], v[139:140]
	v_mul_f64 v[139:140], v[177:178], v[139:140]
	v_fma_f64 v[177:178], v[177:178], v[137:138], -v[185:186]
	s_waitcnt vmcnt(8) lgkmcnt(0)
	v_mul_f64 v[185:186], v[183:184], v[143:144]
	v_mul_f64 v[143:144], v[181:182], v[143:144]
	v_fma_f64 v[179:180], v[179:180], v[137:138], v[139:140]
	ds_read_b128 v[137:140], v214 offset:2112
	v_fma_f64 v[181:182], v[181:182], v[141:142], -v[185:186]
	v_fma_f64 v[183:184], v[183:184], v[141:142], v[143:144]
	ds_read_b128 v[141:144], v214 offset:3168
	s_waitcnt vmcnt(7) lgkmcnt(1)
	v_mul_f64 v[185:186], v[139:140], v[147:148]
	v_mul_f64 v[147:148], v[137:138], v[147:148]
	v_fma_f64 v[137:138], v[137:138], v[145:146], -v[185:186]
	s_waitcnt vmcnt(6) lgkmcnt(0)
	v_mul_f64 v[185:186], v[143:144], v[151:152]
	v_mul_f64 v[151:152], v[141:142], v[151:152]
	v_fma_f64 v[139:140], v[139:140], v[145:146], v[147:148]
	ds_read_b128 v[145:148], v214 offset:4224
	v_fma_f64 v[141:142], v[141:142], v[149:150], -v[185:186]
	v_fma_f64 v[143:144], v[143:144], v[149:150], v[151:152]
	;; [unrolled: 12-line block ×4, first 2 shown]
	ds_read_b128 v[165:168], v214 offset:9504
	s_waitcnt vmcnt(1) lgkmcnt(1)
	v_mul_f64 v[185:186], v[163:164], v[171:172]
	v_mul_f64 v[171:172], v[161:162], v[171:172]
	v_fma_f64 v[161:162], v[161:162], v[169:170], -v[185:186]
	v_fma_f64 v[163:164], v[163:164], v[169:170], v[171:172]
	global_load_dwordx4 v[169:172], v[86:87], off offset:1760
	s_waitcnt vmcnt(1) lgkmcnt(0)
	v_mul_f64 v[86:87], v[167:168], v[175:176]
	v_mul_f64 v[175:176], v[165:166], v[175:176]
	v_fma_f64 v[84:85], v[165:166], v[173:174], -v[86:87]
	v_fma_f64 v[86:87], v[167:168], v[173:174], v[175:176]
	global_load_dwordx4 v[165:168], v[189:190], off offset:768
	ds_read_b128 v[173:176], v214 offset:10560
	ds_read_b128 v[185:188], v214 offset:11616
	s_waitcnt vmcnt(1) lgkmcnt(1)
	v_mul_f64 v[191:192], v[175:176], v[171:172]
	v_mul_f64 v[193:194], v[173:174], v[171:172]
	v_fma_f64 v[171:172], v[173:174], v[169:170], -v[191:192]
	v_fma_f64 v[173:174], v[175:176], v[169:170], v[193:194]
	s_waitcnt vmcnt(0) lgkmcnt(0)
	v_mul_f64 v[169:170], v[187:188], v[167:168]
	v_mul_f64 v[175:176], v[185:186], v[167:168]
	v_fma_f64 v[167:168], v[185:186], v[165:166], -v[169:170]
	v_fma_f64 v[169:170], v[187:188], v[165:166], v[175:176]
	global_load_dwordx4 v[185:188], v[189:190], off offset:1824
	ds_read_b128 v[189:192], v214 offset:12672
	s_waitcnt vmcnt(0) lgkmcnt(0)
	v_mul_f64 v[165:166], v[191:192], v[187:188]
	v_mul_f64 v[175:176], v[189:190], v[187:188]
	v_fma_f64 v[187:188], v[189:190], v[185:186], -v[165:166]
	v_fma_f64 v[189:190], v[191:192], v[185:186], v[175:176]
	ds_write_b128 v214, v[177:180]
	ds_write_b128 v214, v[181:184] offset:1056
	ds_write_b128 v214, v[137:140] offset:2112
	;; [unrolled: 1-line block ×12, first 2 shown]
.LBB0_13:
	s_or_b32 exec_lo, exec_lo, s2
	s_waitcnt lgkmcnt(0)
	s_barrier
	buffer_gl0_inv
	s_and_saveexec_b32 s1, vcc_lo
	s_cbranch_execz .LBB0_15
; %bb.14:
	ds_read_b128 v[88:91], v214
	ds_read_b128 v[132:135], v214 offset:1056
	ds_read_b128 v[128:131], v214 offset:2112
	;; [unrolled: 1-line block ×12, first 2 shown]
.LBB0_15:
	s_or_b32 exec_lo, exec_lo, s1
	s_waitcnt lgkmcnt(0)
	v_add_f64 v[143:144], v[134:135], -v[2:3]
	v_add_f64 v[145:146], v[134:135], v[2:3]
	s_mov_b32 s2, 0x1ea71119
	s_mov_b32 s10, 0x42a4c3d2
	;; [unrolled: 1-line block ×4, first 2 shown]
	v_add_f64 v[141:142], v[132:133], v[0:1]
	v_add_f64 v[149:150], v[132:133], -v[0:1]
	v_add_f64 v[147:148], v[130:131], -v[94:95]
	v_add_f64 v[137:138], v[130:131], v[94:95]
	s_mov_b32 s8, 0xb2365da1
	s_mov_b32 s18, 0x2ef20147
	;; [unrolled: 1-line block ×4, first 2 shown]
	v_add_f64 v[139:140], v[128:129], v[92:93]
	v_add_f64 v[155:156], v[128:129], -v[92:93]
	v_add_f64 v[157:158], v[122:123], -v[102:103]
	v_add_f64 v[151:152], v[122:123], v[102:103]
	s_mov_b32 s16, 0x93053d00
	s_mov_b32 s20, 0x4bc48dbf
	s_mov_b32 s17, 0xbfef11f4
	s_mov_b32 s21, 0xbfcea1e5
	v_mul_f64 v[163:164], v[143:144], s[10:11]
	v_mul_f64 v[173:174], v[145:146], s[2:3]
	v_add_f64 v[153:154], v[120:121], v[100:101]
	v_add_f64 v[165:166], v[120:121], -v[100:101]
	v_add_f64 v[159:160], v[126:127], v[98:99]
	v_add_f64 v[167:168], v[126:127], -v[98:99]
	s_mov_b32 s22, 0xd0032e0c
	s_mov_b32 s28, 0x24c2f84
	v_mul_f64 v[175:176], v[147:148], s[18:19]
	v_mul_f64 v[185:186], v[137:138], s[8:9]
	s_mov_b32 s23, 0xbfe7f3cc
	s_mov_b32 s29, 0x3fe5384d
	v_add_f64 v[161:162], v[124:125], v[96:97]
	v_add_f64 v[177:178], v[124:125], -v[96:97]
	v_add_f64 v[169:170], v[118:119], v[106:107]
	v_add_f64 v[179:180], v[118:119], -v[106:107]
	v_mul_f64 v[189:190], v[157:158], s[20:21]
	v_mul_f64 v[195:196], v[151:152], s[16:17]
	s_mov_b32 s24, 0xebaa3ed8
	s_mov_b32 s25, 0x3fbedb7d
	;; [unrolled: 1-line block ×4, first 2 shown]
	v_fma_f64 v[84:85], v[141:142], s[2:3], -v[163:164]
	v_fma_f64 v[86:87], v[149:150], s[10:11], v[173:174]
	v_add_f64 v[187:188], v[116:117], -v[104:105]
	v_add_f64 v[191:192], v[110:111], -v[114:115]
	v_mul_f64 v[199:200], v[159:160], s[22:23]
	v_mul_f64 v[197:198], v[167:168], s[28:29]
	s_mov_b32 s30, 0xe00740e9
	s_mov_b32 s35, 0x3fddbe06
	v_fma_f64 v[171:172], v[139:140], s[8:9], -v[175:176]
	v_fma_f64 v[181:182], v[155:156], s[18:19], v[185:186]
	s_mov_b32 s34, 0x4267c47c
	s_mov_b32 s31, 0x3fec55a7
	s_barrier
	v_mul_f64 v[205:206], v[169:170], s[24:25]
	v_mul_f64 v[201:202], v[179:180], s[26:27]
	v_fma_f64 v[183:184], v[153:154], s[16:17], -v[189:190]
	v_fma_f64 v[193:194], v[165:166], s[20:21], v[195:196]
	buffer_gl0_inv
	v_add_f64 v[84:85], v[88:89], v[84:85]
	v_add_f64 v[86:87], v[90:91], v[86:87]
	v_mul_f64 v[203:204], v[191:192], s[34:35]
	v_fma_f64 v[218:219], v[177:178], s[28:29], v[199:200]
	v_fma_f64 v[216:217], v[161:162], s[22:23], -v[197:198]
	v_fma_f64 v[222:223], v[187:188], s[26:27], v[205:206]
	v_add_f64 v[84:85], v[171:172], v[84:85]
	v_add_f64 v[86:87], v[181:182], v[86:87]
	;; [unrolled: 1-line block ×7, first 2 shown]
	v_add_f64 v[193:194], v[108:109], -v[112:113]
	v_mul_f64 v[207:208], v[181:182], s[30:31]
	v_fma_f64 v[220:221], v[171:172], s[24:25], -v[201:202]
	v_add_f64 v[84:85], v[216:217], v[84:85]
	v_add_f64 v[86:87], v[218:219], v[86:87]
	v_fma_f64 v[216:217], v[183:184], s[30:31], -v[203:204]
	v_fma_f64 v[218:219], v[193:194], s[34:35], v[207:208]
	v_add_f64 v[84:85], v[220:221], v[84:85]
	v_add_f64 v[86:87], v[222:223], v[86:87]
	;; [unrolled: 1-line block ×4, first 2 shown]
	s_and_saveexec_b32 s1, vcc_lo
	s_cbranch_execz .LBB0_17
; %bb.16:
	v_add_f64 v[132:133], v[88:89], v[132:133]
	v_add_f64 v[134:135], v[90:91], v[134:135]
	s_mov_b32 s37, 0xbfe5384d
	s_mov_b32 s36, s28
	s_mov_b32 s39, 0x3fea55e2
	s_mov_b32 s38, s10
	s_mov_b32 s41, 0x3fcea1e5
	s_mov_b32 s40, s20
	v_mul_f64 v[216:217], v[193:194], s[18:19]
	v_mul_f64 v[218:219], v[191:192], s[18:19]
	;; [unrolled: 1-line block ×4, first 2 shown]
	v_add_f64 v[128:129], v[132:133], v[128:129]
	v_add_f64 v[130:131], v[134:135], v[130:131]
	v_mul_f64 v[132:133], v[193:194], s[38:39]
	v_mul_f64 v[134:135], v[191:192], s[38:39]
	v_add_f64 v[120:121], v[128:129], v[120:121]
	v_add_f64 v[122:123], v[130:131], v[122:123]
	;; [unrolled: 1-line block ×4, first 2 shown]
	v_mul_f64 v[124:125], v[187:188], s[26:27]
	v_add_f64 v[116:117], v[120:121], v[116:117]
	v_add_f64 v[118:119], v[122:123], v[118:119]
	v_mul_f64 v[120:121], v[191:192], s[26:27]
	v_add_f64 v[124:125], v[205:206], -v[124:125]
	v_add_f64 v[108:109], v[116:117], v[108:109]
	v_add_f64 v[110:111], v[118:119], v[110:111]
	v_mul_f64 v[118:119], v[193:194], s[26:27]
	v_add_f64 v[108:109], v[108:109], v[112:113]
	v_add_f64 v[110:111], v[110:111], v[114:115]
	;; [unrolled: 1-line block ×8, first 2 shown]
	v_mul_f64 v[100:101], v[143:144], s[20:21]
	v_mul_f64 v[102:103], v[147:148], s[34:35]
	v_add_f64 v[92:93], v[96:97], v[92:93]
	v_mul_f64 v[96:97], v[149:150], s[20:21]
	v_add_f64 v[94:95], v[98:99], v[94:95]
	v_mul_f64 v[98:99], v[155:156], s[34:35]
	v_fma_f64 v[104:105], v[139:140], s[30:31], -v[102:103]
	v_add_f64 v[0:1], v[92:93], v[0:1]
	v_fma_f64 v[92:93], v[145:146], s[16:17], v[96:97]
	v_add_f64 v[2:3], v[94:95], v[2:3]
	v_fma_f64 v[94:95], v[137:138], s[30:31], v[98:99]
	v_fma_f64 v[96:97], v[145:146], s[16:17], -v[96:97]
	v_fma_f64 v[98:99], v[137:138], s[30:31], -v[98:99]
	v_add_f64 v[92:93], v[90:91], v[92:93]
	v_add_f64 v[96:97], v[90:91], v[96:97]
	;; [unrolled: 1-line block ×3, first 2 shown]
	v_fma_f64 v[94:95], v[141:142], s[16:17], -v[100:101]
	v_add_f64 v[96:97], v[98:99], v[96:97]
	v_fma_f64 v[98:99], v[141:142], s[16:17], v[100:101]
	v_fma_f64 v[100:101], v[139:140], s[30:31], v[102:103]
	;; [unrolled: 1-line block ×3, first 2 shown]
	v_add_f64 v[94:95], v[88:89], v[94:95]
	v_add_f64 v[98:99], v[88:89], v[98:99]
	;; [unrolled: 1-line block ×3, first 2 shown]
	v_mul_f64 v[104:105], v[165:166], s[36:37]
	v_add_f64 v[98:99], v[100:101], v[98:99]
	v_fma_f64 v[106:107], v[151:152], s[22:23], v[104:105]
	v_fma_f64 v[100:101], v[151:152], s[22:23], -v[104:105]
	v_mul_f64 v[104:105], v[149:150], s[18:19]
	v_add_f64 v[92:93], v[106:107], v[92:93]
	v_mul_f64 v[106:107], v[157:158], s[36:37]
	v_add_f64 v[96:97], v[100:101], v[96:97]
	v_fma_f64 v[108:109], v[153:154], s[22:23], -v[106:107]
	v_fma_f64 v[100:101], v[153:154], s[22:23], v[106:107]
	v_mul_f64 v[106:107], v[155:156], s[28:29]
	v_add_f64 v[94:95], v[108:109], v[94:95]
	v_mul_f64 v[108:109], v[177:178], s[38:39]
	v_add_f64 v[98:99], v[100:101], v[98:99]
	v_fma_f64 v[110:111], v[159:160], s[2:3], v[108:109]
	v_fma_f64 v[100:101], v[159:160], s[2:3], -v[108:109]
	v_mul_f64 v[108:109], v[143:144], s[18:19]
	v_add_f64 v[92:93], v[110:111], v[92:93]
	v_mul_f64 v[110:111], v[167:168], s[38:39]
	v_add_f64 v[96:97], v[100:101], v[96:97]
	s_mov_b32 s39, 0x3fedeba7
	s_mov_b32 s38, s18
	v_fma_f64 v[112:113], v[161:162], s[2:3], -v[110:111]
	v_fma_f64 v[100:101], v[161:162], s[2:3], v[110:111]
	v_mul_f64 v[110:111], v[147:148], s[28:29]
	v_add_f64 v[94:95], v[112:113], v[94:95]
	v_mul_f64 v[112:113], v[187:188], s[18:19]
	v_add_f64 v[98:99], v[100:101], v[98:99]
	v_fma_f64 v[114:115], v[169:170], s[8:9], v[112:113]
	v_fma_f64 v[100:101], v[169:170], s[8:9], -v[112:113]
	v_fma_f64 v[112:113], v[139:140], s[22:23], -v[110:111]
	v_add_f64 v[92:93], v[114:115], v[92:93]
	v_mul_f64 v[114:115], v[179:180], s[18:19]
	v_add_f64 v[96:97], v[100:101], v[96:97]
	v_fma_f64 v[100:101], v[171:172], s[8:9], v[114:115]
	v_fma_f64 v[116:117], v[171:172], s[8:9], -v[114:115]
	v_add_f64 v[100:101], v[100:101], v[98:99]
	v_fma_f64 v[98:99], v[181:182], s[24:25], -v[118:119]
	v_add_f64 v[116:117], v[116:117], v[94:95]
	v_fma_f64 v[94:95], v[181:182], s[24:25], v[118:119]
	v_mul_f64 v[118:119], v[147:148], s[26:27]
	v_add_f64 v[98:99], v[98:99], v[96:97]
	v_add_f64 v[96:97], v[102:103], v[100:101]
	v_fma_f64 v[100:101], v[145:146], s[8:9], v[104:105]
	v_fma_f64 v[102:103], v[137:138], s[22:23], v[106:107]
	v_add_f64 v[94:95], v[94:95], v[92:93]
	v_fma_f64 v[92:93], v[183:184], s[24:25], -v[120:121]
	v_fma_f64 v[104:105], v[145:146], s[8:9], -v[104:105]
	;; [unrolled: 1-line block ×3, first 2 shown]
	v_add_f64 v[100:101], v[90:91], v[100:101]
	v_add_f64 v[92:93], v[92:93], v[116:117]
	;; [unrolled: 1-line block ×4, first 2 shown]
	v_fma_f64 v[102:103], v[141:142], s[8:9], -v[108:109]
	v_add_f64 v[104:105], v[106:107], v[104:105]
	v_fma_f64 v[106:107], v[141:142], s[8:9], v[108:109]
	v_fma_f64 v[108:109], v[139:140], s[22:23], v[110:111]
	;; [unrolled: 1-line block ×3, first 2 shown]
	v_add_f64 v[102:103], v[88:89], v[102:103]
	v_add_f64 v[106:107], v[88:89], v[106:107]
	;; [unrolled: 1-line block ×3, first 2 shown]
	v_mul_f64 v[112:113], v[165:166], s[34:35]
	v_add_f64 v[106:107], v[108:109], v[106:107]
	v_fma_f64 v[114:115], v[151:152], s[30:31], v[112:113]
	v_fma_f64 v[108:109], v[151:152], s[30:31], -v[112:113]
	v_mul_f64 v[112:113], v[149:150], s[36:37]
	v_add_f64 v[100:101], v[114:115], v[100:101]
	v_mul_f64 v[114:115], v[157:158], s[34:35]
	v_add_f64 v[104:105], v[108:109], v[104:105]
	v_fma_f64 v[116:117], v[153:154], s[30:31], -v[114:115]
	v_fma_f64 v[108:109], v[153:154], s[30:31], v[114:115]
	v_mul_f64 v[114:115], v[143:144], s[36:37]
	v_add_f64 v[102:103], v[116:117], v[102:103]
	v_mul_f64 v[116:117], v[155:156], s[26:27]
	s_mov_b32 s27, 0xbfefc445
	v_add_f64 v[106:107], v[108:109], v[106:107]
	v_mul_f64 v[120:121], v[177:178], s[26:27]
	v_fma_f64 v[122:123], v[159:160], s[24:25], v[120:121]
	v_fma_f64 v[108:109], v[159:160], s[24:25], -v[120:121]
	v_fma_f64 v[120:121], v[139:140], s[24:25], -v[118:119]
	v_add_f64 v[100:101], v[122:123], v[100:101]
	v_mul_f64 v[122:123], v[167:168], s[26:27]
	v_add_f64 v[104:105], v[108:109], v[104:105]
	v_fma_f64 v[126:127], v[161:162], s[24:25], -v[122:123]
	v_fma_f64 v[108:109], v[161:162], s[24:25], v[122:123]
	v_add_f64 v[102:103], v[126:127], v[102:103]
	v_mul_f64 v[126:127], v[187:188], s[40:41]
	v_add_f64 v[106:107], v[108:109], v[106:107]
	v_fma_f64 v[128:129], v[169:170], s[16:17], v[126:127]
	v_fma_f64 v[108:109], v[169:170], s[16:17], -v[126:127]
	v_add_f64 v[100:101], v[128:129], v[100:101]
	v_mul_f64 v[128:129], v[179:180], s[40:41]
	v_add_f64 v[104:105], v[108:109], v[104:105]
	v_fma_f64 v[108:109], v[171:172], s[16:17], v[128:129]
	v_fma_f64 v[130:131], v[171:172], s[16:17], -v[128:129]
	v_add_f64 v[108:109], v[108:109], v[106:107]
	v_fma_f64 v[106:107], v[181:182], s[2:3], -v[132:133]
	v_add_f64 v[130:131], v[130:131], v[102:103]
	v_fma_f64 v[102:103], v[181:182], s[2:3], v[132:133]
	v_add_f64 v[106:107], v[106:107], v[104:105]
	v_add_f64 v[104:105], v[110:111], v[108:109]
	v_fma_f64 v[108:109], v[145:146], s[22:23], v[112:113]
	v_fma_f64 v[110:111], v[137:138], s[24:25], v[116:117]
	v_fma_f64 v[112:113], v[145:146], s[22:23], -v[112:113]
	v_fma_f64 v[116:117], v[137:138], s[24:25], -v[116:117]
	v_add_f64 v[102:103], v[102:103], v[100:101]
	v_fma_f64 v[100:101], v[183:184], s[2:3], -v[134:135]
	v_add_f64 v[108:109], v[90:91], v[108:109]
	v_add_f64 v[112:113], v[90:91], v[112:113]
	;; [unrolled: 1-line block ×4, first 2 shown]
	v_fma_f64 v[110:111], v[141:142], s[22:23], -v[114:115]
	v_fma_f64 v[114:115], v[141:142], s[22:23], v[114:115]
	v_add_f64 v[112:113], v[116:117], v[112:113]
	v_fma_f64 v[116:117], v[139:140], s[24:25], v[118:119]
	v_fma_f64 v[118:119], v[183:184], s[8:9], v[218:219]
	v_add_f64 v[110:111], v[88:89], v[110:111]
	v_add_f64 v[114:115], v[88:89], v[114:115]
	;; [unrolled: 1-line block ×3, first 2 shown]
	v_mul_f64 v[120:121], v[165:166], s[10:11]
	v_add_f64 v[114:115], v[116:117], v[114:115]
	v_fma_f64 v[122:123], v[151:152], s[2:3], v[120:121]
	v_fma_f64 v[116:117], v[151:152], s[2:3], -v[120:121]
	v_mul_f64 v[120:121], v[149:150], s[26:27]
	v_add_f64 v[108:109], v[122:123], v[108:109]
	v_mul_f64 v[122:123], v[157:158], s[10:11]
	v_add_f64 v[112:113], v[116:117], v[112:113]
	v_fma_f64 v[126:127], v[153:154], s[2:3], -v[122:123]
	v_fma_f64 v[116:117], v[153:154], s[2:3], v[122:123]
	v_mul_f64 v[122:123], v[155:156], s[20:21]
	v_add_f64 v[110:111], v[126:127], v[110:111]
	v_mul_f64 v[126:127], v[177:178], s[40:41]
	v_add_f64 v[114:115], v[116:117], v[114:115]
	v_fma_f64 v[128:129], v[159:160], s[16:17], v[126:127]
	v_fma_f64 v[116:117], v[159:160], s[16:17], -v[126:127]
	v_mul_f64 v[126:127], v[143:144], s[26:27]
	v_add_f64 v[108:109], v[128:129], v[108:109]
	v_mul_f64 v[128:129], v[167:168], s[40:41]
	v_add_f64 v[112:113], v[116:117], v[112:113]
	v_fma_f64 v[130:131], v[161:162], s[16:17], -v[128:129]
	v_fma_f64 v[116:117], v[161:162], s[16:17], v[128:129]
	v_mul_f64 v[128:129], v[147:148], s[20:21]
	v_add_f64 v[110:111], v[130:131], v[110:111]
	v_mul_f64 v[130:131], v[187:188], s[34:35]
	v_add_f64 v[114:115], v[116:117], v[114:115]
	v_fma_f64 v[132:133], v[169:170], s[30:31], v[130:131]
	v_fma_f64 v[116:117], v[169:170], s[30:31], -v[130:131]
	v_fma_f64 v[130:131], v[139:140], s[16:17], -v[128:129]
	v_add_f64 v[108:109], v[132:133], v[108:109]
	v_mul_f64 v[132:133], v[179:180], s[34:35]
	v_add_f64 v[112:113], v[116:117], v[112:113]
	v_fma_f64 v[116:117], v[171:172], s[30:31], v[132:133]
	v_fma_f64 v[134:135], v[171:172], s[30:31], -v[132:133]
	v_add_f64 v[116:117], v[116:117], v[114:115]
	v_fma_f64 v[114:115], v[181:182], s[8:9], -v[216:217]
	v_add_f64 v[134:135], v[134:135], v[110:111]
	v_fma_f64 v[110:111], v[181:182], s[8:9], v[216:217]
	v_add_f64 v[114:115], v[114:115], v[112:113]
	v_add_f64 v[112:113], v[118:119], v[116:117]
	v_fma_f64 v[116:117], v[145:146], s[24:25], v[120:121]
	v_fma_f64 v[118:119], v[137:138], s[16:17], v[122:123]
	v_add_f64 v[110:111], v[110:111], v[108:109]
	v_fma_f64 v[108:109], v[183:184], s[8:9], -v[218:219]
	v_fma_f64 v[120:121], v[145:146], s[24:25], -v[120:121]
	;; [unrolled: 1-line block ×3, first 2 shown]
	v_add_f64 v[116:117], v[90:91], v[116:117]
	v_add_f64 v[108:109], v[108:109], v[134:135]
	;; [unrolled: 1-line block ×4, first 2 shown]
	v_fma_f64 v[118:119], v[141:142], s[24:25], -v[126:127]
	v_add_f64 v[120:121], v[122:123], v[120:121]
	v_add_f64 v[118:119], v[88:89], v[118:119]
	;; [unrolled: 1-line block ×3, first 2 shown]
	v_mul_f64 v[130:131], v[165:166], s[38:39]
	v_fma_f64 v[132:133], v[151:152], s[8:9], v[130:131]
	v_fma_f64 v[122:123], v[151:152], s[8:9], -v[130:131]
	v_mul_f64 v[130:131], v[155:156], s[18:19]
	v_add_f64 v[116:117], v[132:133], v[116:117]
	v_mul_f64 v[132:133], v[157:158], s[38:39]
	v_add_f64 v[120:121], v[122:123], v[120:121]
	v_add_f64 v[130:131], v[185:186], -v[130:131]
	v_fma_f64 v[134:135], v[153:154], s[8:9], -v[132:133]
	v_add_f64 v[118:119], v[134:135], v[118:119]
	v_mul_f64 v[134:135], v[177:178], s[34:35]
	v_fma_f64 v[216:217], v[159:160], s[30:31], v[134:135]
	v_fma_f64 v[122:123], v[159:160], s[30:31], -v[134:135]
	v_add_f64 v[116:117], v[216:217], v[116:117]
	v_mul_f64 v[216:217], v[167:168], s[34:35]
	v_add_f64 v[120:121], v[122:123], v[120:121]
	v_fma_f64 v[218:219], v[161:162], s[30:31], -v[216:217]
	v_add_f64 v[118:119], v[218:219], v[118:119]
	v_mul_f64 v[218:219], v[187:188], s[10:11]
	v_fma_f64 v[122:123], v[169:170], s[2:3], -v[218:219]
	v_fma_f64 v[220:221], v[169:170], s[2:3], v[218:219]
	v_add_f64 v[120:121], v[122:123], v[120:121]
	v_fma_f64 v[122:123], v[141:142], s[24:25], v[126:127]
	v_fma_f64 v[126:127], v[139:140], s[16:17], v[128:129]
	v_add_f64 v[116:117], v[220:221], v[116:117]
	v_mul_f64 v[220:221], v[179:180], s[10:11]
	v_fma_f64 v[128:129], v[183:184], s[22:23], v[226:227]
	v_add_f64 v[122:123], v[88:89], v[122:123]
	v_fma_f64 v[222:223], v[171:172], s[2:3], -v[220:221]
	v_add_f64 v[122:123], v[126:127], v[122:123]
	v_fma_f64 v[126:127], v[153:154], s[8:9], v[132:133]
	v_mul_f64 v[132:133], v[139:140], s[8:9]
	v_add_f64 v[222:223], v[222:223], v[118:119]
	v_fma_f64 v[118:119], v[181:182], s[22:23], v[224:225]
	v_add_f64 v[122:123], v[126:127], v[122:123]
	v_fma_f64 v[126:127], v[161:162], s[30:31], v[216:217]
	v_add_f64 v[132:133], v[132:133], v[175:176]
	v_add_f64 v[118:119], v[118:119], v[116:117]
	v_fma_f64 v[116:117], v[183:184], s[22:23], -v[226:227]
	v_add_f64 v[122:123], v[126:127], v[122:123]
	v_fma_f64 v[126:127], v[171:172], s[2:3], v[220:221]
	v_add_f64 v[116:117], v[116:117], v[222:223]
	v_add_f64 v[126:127], v[126:127], v[122:123]
	v_fma_f64 v[122:123], v[181:182], s[22:23], -v[224:225]
	v_add_f64 v[122:123], v[122:123], v[120:121]
	v_add_f64 v[120:121], v[128:129], v[126:127]
	v_mul_f64 v[128:129], v[149:150], s[10:11]
	v_mul_f64 v[126:127], v[165:166], s[20:21]
	v_add_f64 v[128:129], v[173:174], -v[128:129]
	v_add_f64 v[126:127], v[195:196], -v[126:127]
	v_add_f64 v[128:129], v[90:91], v[128:129]
	v_add_f64 v[128:129], v[130:131], v[128:129]
	v_mul_f64 v[130:131], v[177:178], s[28:29]
	v_add_f64 v[126:127], v[126:127], v[128:129]
	v_add_f64 v[130:131], v[199:200], -v[130:131]
	v_mul_f64 v[128:129], v[193:194], s[34:35]
	s_mov_b32 s35, 0xbfddbe06
	v_add_f64 v[126:127], v[130:131], v[126:127]
	v_mul_f64 v[130:131], v[141:142], s[2:3]
	v_add_f64 v[128:129], v[207:208], -v[128:129]
	v_add_f64 v[124:125], v[124:125], v[126:127]
	v_add_f64 v[130:131], v[130:131], v[163:164]
	v_mul_f64 v[126:127], v[153:154], s[16:17]
	v_mul_f64 v[163:164], v[191:192], s[20:21]
	v_add_f64 v[130:131], v[88:89], v[130:131]
	v_add_f64 v[126:127], v[126:127], v[189:190]
	;; [unrolled: 1-line block ×3, first 2 shown]
	v_mul_f64 v[132:133], v[161:162], s[22:23]
	v_add_f64 v[126:127], v[126:127], v[130:131]
	v_add_f64 v[132:133], v[132:133], v[197:198]
	v_mul_f64 v[130:131], v[171:172], s[24:25]
	v_add_f64 v[126:127], v[132:133], v[126:127]
	v_add_f64 v[130:131], v[130:131], v[201:202]
	;; [unrolled: 3-line block ×3, first 2 shown]
	v_add_f64 v[126:127], v[128:129], v[124:125]
	v_mul_f64 v[128:129], v[149:150], s[34:35]
	v_add_f64 v[124:125], v[132:133], v[130:131]
	v_mul_f64 v[132:133], v[143:144], s[34:35]
	v_fma_f64 v[130:131], v[145:146], s[30:31], v[128:129]
	v_fma_f64 v[128:129], v[145:146], s[30:31], -v[128:129]
	v_fma_f64 v[134:135], v[141:142], s[30:31], -v[132:133]
	v_fma_f64 v[132:133], v[141:142], s[30:31], v[132:133]
	v_add_f64 v[130:131], v[90:91], v[130:131]
	v_add_f64 v[90:91], v[90:91], v[128:129]
	v_mul_f64 v[128:129], v[155:156], s[10:11]
	v_add_f64 v[134:135], v[88:89], v[134:135]
	v_add_f64 v[88:89], v[88:89], v[132:133]
	v_fma_f64 v[132:133], v[137:138], s[2:3], -v[128:129]
	v_fma_f64 v[128:129], v[137:138], s[2:3], v[128:129]
	v_add_f64 v[90:91], v[132:133], v[90:91]
	v_mul_f64 v[132:133], v[165:166], s[26:27]
	v_add_f64 v[128:129], v[128:129], v[130:131]
	v_fma_f64 v[141:142], v[151:152], s[24:25], -v[132:133]
	v_fma_f64 v[132:133], v[151:152], s[24:25], v[132:133]
	v_add_f64 v[90:91], v[141:142], v[90:91]
	v_mul_f64 v[141:142], v[177:178], s[18:19]
	v_add_f64 v[128:129], v[132:133], v[128:129]
	v_fma_f64 v[143:144], v[159:160], s[8:9], -v[141:142]
	v_add_f64 v[90:91], v[143:144], v[90:91]
	v_mul_f64 v[143:144], v[187:188], s[36:37]
	v_fma_f64 v[145:146], v[169:170], s[22:23], -v[143:144]
	v_add_f64 v[90:91], v[145:146], v[90:91]
	v_mul_f64 v[145:146], v[147:148], s[10:11]
	v_fma_f64 v[147:148], v[139:140], s[2:3], v[145:146]
	v_fma_f64 v[137:138], v[139:140], s[2:3], -v[145:146]
	v_add_f64 v[88:89], v[147:148], v[88:89]
	v_mul_f64 v[147:148], v[157:158], s[26:27]
	v_add_f64 v[134:135], v[137:138], v[134:135]
	v_fma_f64 v[137:138], v[159:160], s[8:9], v[141:142]
	v_fma_f64 v[149:150], v[153:154], s[24:25], v[147:148]
	v_fma_f64 v[130:131], v[153:154], s[24:25], -v[147:148]
	v_add_f64 v[128:129], v[137:138], v[128:129]
	v_add_f64 v[88:89], v[149:150], v[88:89]
	v_mul_f64 v[149:150], v[167:168], s[18:19]
	v_add_f64 v[130:131], v[130:131], v[134:135]
	v_fma_f64 v[134:135], v[169:170], s[22:23], v[143:144]
	v_fma_f64 v[155:156], v[161:162], s[8:9], v[149:150]
	v_fma_f64 v[132:133], v[161:162], s[8:9], -v[149:150]
	v_add_f64 v[128:129], v[134:135], v[128:129]
	v_fma_f64 v[134:135], v[183:184], s[16:17], -v[163:164]
	v_add_f64 v[88:89], v[155:156], v[88:89]
	v_mul_f64 v[155:156], v[179:180], s[36:37]
	v_add_f64 v[130:131], v[132:133], v[130:131]
	v_fma_f64 v[157:158], v[171:172], s[22:23], v[155:156]
	v_fma_f64 v[137:138], v[171:172], s[22:23], -v[155:156]
	v_add_f64 v[88:89], v[157:158], v[88:89]
	v_mul_f64 v[157:158], v[193:194], s[20:21]
	v_add_f64 v[137:138], v[137:138], v[130:131]
	v_fma_f64 v[165:166], v[181:182], s[16:17], -v[157:158]
	v_fma_f64 v[132:133], v[181:182], s[16:17], v[157:158]
	v_add_f64 v[90:91], v[165:166], v[90:91]
	v_fma_f64 v[165:166], v[183:184], s[16:17], v[163:164]
	v_add_f64 v[130:131], v[132:133], v[128:129]
	v_add_f64 v[128:129], v[134:135], v[137:138]
	v_and_b32_e32 v132, 0xffff, v212
	v_lshl_add_u32 v132, v132, 4, v211
	v_add_f64 v[88:89], v[165:166], v[88:89]
	ds_write_b128 v132, v[0:3]
	ds_write_b128 v132, v[88:91] offset:16
	ds_write_b128 v132, v[124:127] offset:32
	;; [unrolled: 1-line block ×12, first 2 shown]
.LBB0_17:
	s_or_b32 exec_lo, exec_lo, s1
	s_waitcnt lgkmcnt(0)
	s_barrier
	buffer_gl0_inv
	ds_read_b128 v[88:91], v213 offset:1248
	ds_read_b128 v[0:3], v213
	ds_read_b128 v[92:95], v213 offset:2496
	ds_read_b128 v[96:99], v213 offset:3744
	ds_read_b128 v[100:103], v213 offset:4992
	ds_read_b128 v[104:107], v213 offset:6240
	ds_read_b128 v[108:111], v213 offset:7488
	ds_read_b128 v[112:115], v213 offset:8736
	ds_read_b128 v[116:119], v213 offset:9984
	ds_read_b128 v[120:123], v213 offset:11232
	ds_read_b128 v[124:127], v213 offset:12480
	s_mov_b32 s8, 0xf8bb580b
	s_mov_b32 s10, 0x8764f0ba
	;; [unrolled: 1-line block ×9, first 2 shown]
	s_waitcnt lgkmcnt(10)
	v_mul_f64 v[128:129], v[26:27], v[90:91]
	v_mul_f64 v[26:27], v[26:27], v[88:89]
	s_waitcnt lgkmcnt(8)
	v_mul_f64 v[132:133], v[18:19], v[94:95]
	v_mul_f64 v[18:19], v[18:19], v[92:93]
	;; [unrolled: 3-line block ×3, first 2 shown]
	s_mov_b32 s30, 0x7f775887
	s_waitcnt lgkmcnt(3)
	v_mul_f64 v[141:142], v[30:31], v[114:115]
	s_waitcnt lgkmcnt(2)
	v_mul_f64 v[134:135], v[34:35], v[118:119]
	v_mul_f64 v[34:35], v[34:35], v[116:117]
	s_waitcnt lgkmcnt(0)
	v_mul_f64 v[130:131], v[42:43], v[124:125]
	v_mul_f64 v[30:31], v[30:31], v[112:113]
	s_mov_b32 s34, 0xfd768dbf
	s_mov_b32 s38, 0x9bcd5057
	s_mov_b32 s3, 0x3fe14ced
	s_mov_b32 s17, 0xbfed1bb4
	s_mov_b32 s21, 0x3fda9628
	s_mov_b32 s23, 0xbfefac9e
	s_mov_b32 s25, 0xbfc2375f
	s_mov_b32 s27, 0xbfe82f19
	s_mov_b32 s31, 0xbfe4f49e
	s_mov_b32 s35, 0xbfd207e7
	v_fma_f64 v[88:89], v[24:25], v[88:89], v[128:129]
	v_fma_f64 v[24:25], v[24:25], v[90:91], -v[26:27]
	v_mul_f64 v[26:27], v[42:43], v[126:127]
	v_mul_f64 v[42:43], v[38:39], v[122:123]
	;; [unrolled: 1-line block ×5, first 2 shown]
	v_fma_f64 v[92:93], v[16:17], v[92:93], v[132:133]
	v_fma_f64 v[16:17], v[16:17], v[94:95], -v[18:19]
	s_mov_b32 s39, 0xbfeeb42a
	v_fma_f64 v[6:7], v[40:41], v[126:127], -v[130:131]
	v_mul_f64 v[126:127], v[14:15], v[106:107]
	v_mul_f64 v[14:15], v[14:15], v[104:105]
	v_mul_f64 v[130:131], v[22:23], v[110:111]
	v_mul_f64 v[22:23], v[22:23], v[108:109]
	s_mov_b32 s2, s8
	s_mov_b32 s19, 0x3fed1bb4
	;; [unrolled: 1-line block ×7, first 2 shown]
	v_add_f64 v[18:19], v[0:1], v[88:89]
	v_add_f64 v[94:95], v[2:3], v[24:25]
	v_fma_f64 v[10:11], v[40:41], v[124:125], v[26:27]
	v_fma_f64 v[26:27], v[36:37], v[120:121], v[42:43]
	v_fma_f64 v[36:37], v[36:37], v[122:123], -v[38:39]
	v_fma_f64 v[38:39], v[8:9], v[96:97], v[90:91]
	v_fma_f64 v[8:9], v[8:9], v[98:99], -v[128:129]
	;; [unrolled: 2-line block ×6, first 2 shown]
	v_add_f64 v[30:31], v[24:25], -v[6:7]
	v_add_f64 v[24:25], v[24:25], v[6:7]
	v_fma_f64 v[14:15], v[20:21], v[108:109], v[130:131]
	v_fma_f64 v[20:21], v[20:21], v[110:111], -v[22:23]
	s_mov_b32 s36, s26
	s_mov_b32 s40, s34
	v_add_f64 v[18:19], v[18:19], v[92:93]
	v_add_f64 v[94:95], v[94:95], v[16:17]
	;; [unrolled: 1-line block ×3, first 2 shown]
	v_add_f64 v[88:89], v[88:89], -v[10:11]
	v_add_f64 v[98:99], v[16:17], -v[36:37]
	v_add_f64 v[16:17], v[16:17], v[36:37]
	v_add_f64 v[96:97], v[92:93], v[26:27]
	v_add_f64 v[92:93], v[92:93], -v[26:27]
	v_add_f64 v[102:103], v[8:9], v[32:33]
	v_add_f64 v[106:107], v[8:9], -v[32:33]
	;; [unrolled: 2-line block ×4, first 2 shown]
	v_add_f64 v[108:109], v[34:35], v[42:43]
	v_mul_f64 v[114:115], v[30:31], s[8:9]
	v_mul_f64 v[116:117], v[24:25], s[10:11]
	;; [unrolled: 1-line block ×6, first 2 shown]
	s_barrier
	v_add_f64 v[18:19], v[18:19], v[38:39]
	v_add_f64 v[8:9], v[94:95], v[8:9]
	v_mul_f64 v[38:39], v[30:31], s[22:23]
	v_mul_f64 v[94:95], v[24:25], s[24:25]
	;; [unrolled: 1-line block ×13, first 2 shown]
	v_fma_f64 v[157:158], v[22:23], s[10:11], v[114:115]
	v_fma_f64 v[159:160], v[88:89], s[2:3], v[116:117]
	v_mul_f64 v[16:17], v[16:17], s[10:11]
	v_mul_f64 v[143:144], v[106:107], s[22:23]
	;; [unrolled: 1-line block ×3, first 2 shown]
	v_fma_f64 v[114:115], v[22:23], s[10:11], -v[114:115]
	v_fma_f64 v[116:117], v[88:89], s[8:9], v[116:117]
	v_add_f64 v[18:19], v[18:19], v[34:35]
	v_add_f64 v[4:5], v[8:9], v[4:5]
	v_fma_f64 v[161:162], v[22:23], s[20:21], v[118:119]
	v_fma_f64 v[163:164], v[88:89], s[18:19], v[120:121]
	v_fma_f64 v[118:119], v[22:23], s[20:21], -v[118:119]
	v_fma_f64 v[120:121], v[88:89], s[16:17], v[120:121]
	v_fma_f64 v[165:166], v[22:23], s[24:25], v[38:39]
	v_fma_f64 v[167:168], v[88:89], s[28:29], v[94:95]
	v_fma_f64 v[38:39], v[22:23], s[24:25], -v[38:39]
	v_fma_f64 v[94:95], v[88:89], s[22:23], v[94:95]
	;; [unrolled: 4-line block ×4, first 2 shown]
	v_fma_f64 v[30:31], v[96:97], s[20:21], v[126:127]
	v_fma_f64 v[88:89], v[92:93], s[18:19], v[128:129]
	v_add_f64 v[157:158], v[0:1], v[157:158]
	v_add_f64 v[159:160], v[2:3], v[159:160]
	;; [unrolled: 1-line block ×4, first 2 shown]
	v_mul_f64 v[8:9], v[106:107], s[18:19]
	v_mul_f64 v[151:152], v[102:103], s[20:21]
	v_fma_f64 v[126:127], v[96:97], s[20:21], -v[126:127]
	v_fma_f64 v[128:129], v[92:93], s[16:17], v[128:129]
	v_fma_f64 v[177:178], v[96:97], s[30:31], v[130:131]
	v_fma_f64 v[179:180], v[92:93], s[36:37], v[132:133]
	v_fma_f64 v[130:131], v[96:97], s[30:31], -v[130:131]
	v_fma_f64 v[132:133], v[92:93], s[26:27], v[132:133]
	v_fma_f64 v[181:182], v[96:97], s[38:39], v[134:135]
	v_fma_f64 v[183:184], v[92:93], s[34:35], v[137:138]
	;; [unrolled: 4-line block ×4, first 2 shown]
	v_fma_f64 v[96:97], v[96:97], s[10:11], -v[98:99]
	v_fma_f64 v[16:17], v[92:93], s[2:3], v[16:17]
	v_add_f64 v[18:19], v[18:19], v[14:15]
	v_add_f64 v[4:5], v[4:5], v[20:21]
	v_fma_f64 v[92:93], v[100:101], s[24:25], v[143:144]
	v_fma_f64 v[98:99], v[104:105], s[28:29], v[145:146]
	v_add_f64 v[118:119], v[0:1], v[118:119]
	v_add_f64 v[120:121], v[2:3], v[120:121]
	;; [unrolled: 1-line block ×6, first 2 shown]
	v_mul_f64 v[153:154], v[106:107], s[8:9]
	v_mul_f64 v[147:148], v[106:107], s[40:41]
	;; [unrolled: 1-line block ×6, first 2 shown]
	v_fma_f64 v[197:198], v[100:101], s[20:21], v[8:9]
	v_fma_f64 v[199:200], v[104:105], s[16:17], v[151:152]
	v_fma_f64 v[8:9], v[100:101], s[20:21], -v[8:9]
	v_fma_f64 v[151:152], v[104:105], s[18:19], v[151:152]
	v_fma_f64 v[143:144], v[100:101], s[24:25], -v[143:144]
	v_fma_f64 v[145:146], v[104:105], s[22:23], v[145:146]
	v_add_f64 v[18:19], v[18:19], v[42:43]
	v_add_f64 v[4:5], v[4:5], v[28:29]
	v_add_f64 v[28:29], v[0:1], v[114:115]
	v_add_f64 v[114:115], v[2:3], v[116:117]
	v_add_f64 v[116:117], v[0:1], v[161:162]
	v_add_f64 v[161:162], v[2:3], v[163:164]
	v_add_f64 v[163:164], v[0:1], v[165:166]
	v_add_f64 v[165:166], v[2:3], v[167:168]
	v_add_f64 v[167:168], v[0:1], v[169:170]
	v_add_f64 v[169:170], v[2:3], v[171:172]
	v_add_f64 v[171:172], v[0:1], v[173:174]
	v_add_f64 v[173:174], v[2:3], v[175:176]
	v_add_f64 v[0:1], v[0:1], v[22:23]
	v_add_f64 v[2:3], v[2:3], v[24:25]
	v_add_f64 v[22:23], v[30:31], v[157:158]
	v_add_f64 v[24:25], v[88:89], v[159:160]
	v_add_f64 v[38:39], v[134:135], v[38:39]
	v_add_f64 v[94:95], v[137:138], v[94:95]
	v_fma_f64 v[193:194], v[100:101], s[38:39], v[147:148]
	v_fma_f64 v[195:196], v[104:105], s[34:35], v[149:150]
	v_fma_f64 v[147:148], v[100:101], s[38:39], -v[147:148]
	v_fma_f64 v[149:150], v[104:105], s[40:41], v[149:150]
	v_add_f64 v[18:19], v[18:19], v[40:41]
	v_add_f64 v[4:5], v[4:5], v[32:33]
	;; [unrolled: 1-line block ×16, first 2 shown]
	v_add_f64 v[24:25], v[34:35], -v[42:43]
	v_mul_f64 v[34:35], v[110:111], s[30:31]
	v_fma_f64 v[42:43], v[104:105], s[2:3], v[155:156]
	v_mul_f64 v[92:93], v[112:113], s[28:29]
	v_mul_f64 v[96:97], v[110:111], s[24:25]
	v_fma_f64 v[98:99], v[100:101], s[10:11], -v[153:154]
	v_add_f64 v[18:19], v[18:19], v[26:27]
	v_add_f64 v[4:5], v[4:5], v[36:37]
	v_mul_f64 v[26:27], v[112:113], s[26:27]
	v_fma_f64 v[36:37], v[100:101], s[10:11], v[153:154]
	v_fma_f64 v[132:133], v[104:105], s[8:9], v[155:156]
	;; [unrolled: 1-line block ×4, first 2 shown]
	v_add_f64 v[8:9], v[8:9], v[38:39]
	v_add_f64 v[38:39], v[151:152], v[94:95]
	v_fma_f64 v[94:95], v[100:101], s[30:31], -v[106:107]
	v_fma_f64 v[100:101], v[104:105], s[26:27], v[102:103]
	v_add_f64 v[116:117], v[181:182], v[163:164]
	v_mul_f64 v[106:107], v[112:113], s[8:9]
	v_add_f64 v[118:119], v[183:184], v[165:166]
	v_add_f64 v[28:29], v[143:144], v[28:29]
	;; [unrolled: 1-line block ×4, first 2 shown]
	v_fma_f64 v[104:105], v[24:25], s[36:37], v[34:35]
	v_fma_f64 v[34:35], v[24:25], s[26:27], v[34:35]
	v_add_f64 v[40:41], v[195:196], v[40:41]
	v_add_f64 v[88:89], v[147:148], v[88:89]
	;; [unrolled: 1-line block ×4, first 2 shown]
	v_fma_f64 v[126:127], v[108:109], s[24:25], v[92:93]
	v_fma_f64 v[102:103], v[108:109], s[30:31], v[26:27]
	v_add_f64 v[36:37], v[36:37], v[120:121]
	v_fma_f64 v[26:27], v[108:109], s[30:31], -v[26:27]
	v_mul_f64 v[120:121], v[110:111], s[10:11]
	v_fma_f64 v[139:140], v[24:25], s[22:23], v[96:97]
	v_add_f64 v[98:99], v[98:99], v[122:123]
	v_fma_f64 v[92:93], v[108:109], s[24:25], -v[92:93]
	v_fma_f64 v[96:97], v[24:25], s[28:29], v[96:97]
	v_add_f64 v[122:123], v[132:133], v[124:125]
	v_mul_f64 v[124:125], v[112:113], s[34:35]
	v_mul_f64 v[132:133], v[110:111], s[38:39]
	;; [unrolled: 1-line block ×4, first 2 shown]
	v_add_f64 v[0:1], v[94:95], v[0:1]
	v_add_f64 v[116:117], v[197:198], v[116:117]
	;; [unrolled: 1-line block ×3, first 2 shown]
	v_add_f64 v[22:23], v[12:13], -v[20:21]
	v_add_f64 v[12:13], v[12:13], v[20:21]
	v_fma_f64 v[20:21], v[108:109], s[10:11], v[106:107]
	v_add_f64 v[130:131], v[191:192], v[173:174]
	v_add_f64 v[118:119], v[199:200], v[118:119]
	v_add_f64 v[2:3], v[100:101], v[2:3]
	v_add_f64 v[100:101], v[34:35], v[30:31]
	v_fma_f64 v[34:35], v[108:109], s[10:11], -v[106:107]
	v_add_f64 v[28:29], v[26:27], v[28:29]
	v_fma_f64 v[26:27], v[24:25], s[2:3], v[120:121]
	v_add_f64 v[128:129], v[189:190], v[171:172]
	v_add_f64 v[16:17], v[102:103], v[16:17]
	;; [unrolled: 1-line block ×6, first 2 shown]
	v_fma_f64 v[92:93], v[24:25], s[8:9], v[120:121]
	v_fma_f64 v[96:97], v[108:109], s[38:39], v[124:125]
	;; [unrolled: 1-line block ×3, first 2 shown]
	v_fma_f64 v[104:105], v[108:109], s[38:39], -v[124:125]
	v_fma_f64 v[106:107], v[24:25], s[34:35], v[132:133]
	v_fma_f64 v[114:115], v[108:109], s[20:21], v[112:113]
	;; [unrolled: 1-line block ×3, first 2 shown]
	v_fma_f64 v[108:109], v[108:109], s[20:21], -v[112:113]
	v_fma_f64 v[24:25], v[24:25], s[18:19], v[110:111]
	v_add_f64 v[110:111], v[90:91], v[14:15]
	v_add_f64 v[14:15], v[90:91], -v[14:15]
	v_mul_f64 v[90:91], v[22:23], s[34:35]
	v_mul_f64 v[112:113], v[12:13], s[38:39]
	v_add_f64 v[116:117], v[20:21], v[116:117]
	v_mul_f64 v[20:21], v[22:23], s[2:3]
	v_mul_f64 v[124:125], v[12:13], s[10:11]
	v_add_f64 v[130:131], v[137:138], v[130:131]
	v_add_f64 v[118:119], v[26:27], v[118:119]
	v_mul_f64 v[26:27], v[22:23], s[26:27]
	v_mul_f64 v[126:127], v[12:13], s[30:31]
	v_add_f64 v[8:9], v[34:35], v[8:9]
	v_mul_f64 v[34:35], v[22:23], s[18:19]
	v_mul_f64 v[132:133], v[12:13], s[20:21]
	;; [unrolled: 3-line block ×3, first 2 shown]
	v_add_f64 v[92:93], v[92:93], v[38:39]
	v_add_f64 v[38:39], v[102:103], v[42:43]
	;; [unrolled: 1-line block ×7, first 2 shown]
	v_fma_f64 v[24:25], v[110:111], s[38:39], v[90:91]
	v_fma_f64 v[104:105], v[14:15], s[40:41], v[112:113]
	v_fma_f64 v[90:91], v[110:111], s[38:39], -v[90:91]
	v_fma_f64 v[106:107], v[110:111], s[10:11], v[20:21]
	v_fma_f64 v[108:109], v[14:15], s[8:9], v[124:125]
	v_add_f64 v[102:103], v[120:121], v[130:131]
	v_fma_f64 v[124:125], v[14:15], s[2:3], v[124:125]
	v_fma_f64 v[120:121], v[110:111], s[30:31], v[26:27]
	;; [unrolled: 1-line block ×6, first 2 shown]
	v_add_f64 v[98:99], v[114:115], v[128:129]
	v_fma_f64 v[114:115], v[110:111], s[10:11], -v[20:21]
	v_fma_f64 v[137:138], v[110:111], s[20:21], -v[34:35]
	v_fma_f64 v[139:140], v[110:111], s[24:25], v[22:23]
	v_fma_f64 v[141:142], v[14:15], s[28:29], v[12:13]
	v_fma_f64 v[128:129], v[110:111], s[30:31], -v[26:27]
	v_fma_f64 v[110:111], v[110:111], s[24:25], -v[22:23]
	v_fma_f64 v[143:144], v[14:15], s[22:23], v[12:13]
	v_fma_f64 v[132:133], v[14:15], s[18:19], v[132:133]
	;; [unrolled: 1-line block ×3, first 2 shown]
	v_add_f64 v[20:21], v[18:19], v[10:11]
	v_add_f64 v[22:23], v[4:5], v[6:7]
	;; [unrolled: 1-line block ×22, first 2 shown]
	buffer_gl0_inv
	ds_write_b128 v215, v[20:23]
	ds_write_b128 v215, v[24:27] offset:208
	ds_write_b128 v215, v[28:31] offset:416
	;; [unrolled: 1-line block ×10, first 2 shown]
	s_waitcnt lgkmcnt(0)
	s_barrier
	buffer_gl0_inv
	ds_read_b128 v[20:23], v213
	ds_read_b128 v[24:27], v213 offset:2288
	ds_read_b128 v[28:31], v213 offset:4576
	ds_read_b128 v[36:39], v213 offset:6864
	ds_read_b128 v[32:35], v213 offset:9152
	ds_read_b128 v[40:43], v213 offset:11440
	s_and_saveexec_b32 s1, s0
	s_cbranch_execz .LBB0_19
; %bb.18:
	ds_read_b128 v[0:3], v213 offset:1248
	ds_read_b128 v[4:7], v213 offset:3536
	;; [unrolled: 1-line block ×6, first 2 shown]
.LBB0_19:
	s_or_b32 exec_lo, exec_lo, s1
	s_waitcnt lgkmcnt(2)
	v_mul_f64 v[88:89], v[66:67], v[36:37]
	s_waitcnt lgkmcnt(0)
	v_mul_f64 v[90:91], v[70:71], v[40:41]
	v_mul_f64 v[92:93], v[74:75], v[24:25]
	;; [unrolled: 1-line block ×5, first 2 shown]
	s_mov_b32 s2, 0xe8584caa
	s_mov_b32 s3, 0xbfebb67a
	;; [unrolled: 1-line block ×4, first 2 shown]
	v_fma_f64 v[38:39], v[64:65], v[38:39], -v[88:89]
	v_fma_f64 v[42:43], v[68:69], v[42:43], -v[90:91]
	v_mul_f64 v[88:89], v[82:83], v[30:31]
	v_mul_f64 v[82:83], v[82:83], v[28:29]
	;; [unrolled: 1-line block ×4, first 2 shown]
	v_fma_f64 v[36:37], v[64:65], v[36:37], v[66:67]
	v_fma_f64 v[40:41], v[68:69], v[40:41], v[70:71]
	v_fma_f64 v[26:27], v[72:73], v[26:27], -v[92:93]
	v_fma_f64 v[24:25], v[72:73], v[24:25], v[74:75]
	v_add_f64 v[64:65], v[38:39], v[42:43]
	v_fma_f64 v[28:29], v[80:81], v[28:29], v[88:89]
	v_fma_f64 v[30:31], v[80:81], v[30:31], -v[82:83]
	v_fma_f64 v[32:33], v[76:77], v[32:33], v[90:91]
	v_fma_f64 v[34:35], v[76:77], v[34:35], -v[78:79]
	v_add_f64 v[74:75], v[38:39], -v[42:43]
	v_add_f64 v[66:67], v[36:37], v[40:41]
	v_add_f64 v[68:69], v[36:37], -v[40:41]
	v_fma_f64 v[64:65], v[64:65], -0.5, v[26:27]
	v_add_f64 v[26:27], v[26:27], v[38:39]
	v_add_f64 v[70:71], v[28:29], v[32:33]
	v_add_f64 v[72:73], v[30:31], v[34:35]
	v_add_f64 v[78:79], v[30:31], -v[34:35]
	v_fma_f64 v[66:67], v[66:67], -0.5, v[24:25]
	v_add_f64 v[30:31], v[22:23], v[30:31]
	v_add_f64 v[24:25], v[24:25], v[36:37]
	v_fma_f64 v[76:77], v[68:69], s[8:9], v[64:65]
	v_fma_f64 v[64:65], v[68:69], s[2:3], v[64:65]
	v_add_f64 v[68:69], v[20:21], v[28:29]
	v_add_f64 v[28:29], v[28:29], -v[32:33]
	v_fma_f64 v[20:21], v[70:71], -0.5, v[20:21]
	v_fma_f64 v[22:23], v[72:73], -0.5, v[22:23]
	v_fma_f64 v[36:37], v[74:75], s[2:3], v[66:67]
	v_fma_f64 v[38:39], v[74:75], s[8:9], v[66:67]
	v_add_f64 v[30:31], v[30:31], v[34:35]
	v_add_f64 v[24:25], v[24:25], v[40:41]
	;; [unrolled: 1-line block ×3, first 2 shown]
	v_mul_f64 v[66:67], v[76:77], s[2:3]
	v_mul_f64 v[72:73], v[76:77], 0.5
	v_mul_f64 v[70:71], v[64:65], s[2:3]
	v_mul_f64 v[64:65], v[64:65], -0.5
	v_add_f64 v[32:33], v[68:69], v[32:33]
	v_fma_f64 v[40:41], v[78:79], s[2:3], v[20:21]
	v_fma_f64 v[68:69], v[28:29], s[8:9], v[22:23]
	;; [unrolled: 1-line block ×4, first 2 shown]
	v_add_f64 v[22:23], v[30:31], v[26:27]
	v_add_f64 v[26:27], v[30:31], -v[26:27]
	v_fma_f64 v[66:67], v[36:37], 0.5, v[66:67]
	v_fma_f64 v[72:73], v[36:37], s[8:9], v[72:73]
	v_fma_f64 v[70:71], v[38:39], -0.5, v[70:71]
	v_fma_f64 v[64:65], v[38:39], s[8:9], v[64:65]
	v_add_f64 v[20:21], v[32:33], v[24:25]
	v_add_f64 v[24:25], v[32:33], -v[24:25]
	v_add_f64 v[28:29], v[40:41], v[66:67]
	v_add_f64 v[30:31], v[68:69], v[72:73]
	;; [unrolled: 1-line block ×4, first 2 shown]
	v_add_f64 v[36:37], v[40:41], -v[66:67]
	v_add_f64 v[38:39], v[68:69], -v[72:73]
	;; [unrolled: 1-line block ×4, first 2 shown]
	ds_write_b128 v214, v[20:23]
	ds_write_b128 v214, v[24:27] offset:6864
	ds_write_b128 v214, v[28:31] offset:2288
	ds_write_b128 v214, v[32:35] offset:4576
	ds_write_b128 v214, v[36:39] offset:9152
	ds_write_b128 v214, v[40:43] offset:11440
	s_and_saveexec_b32 s1, s0
	s_cbranch_execz .LBB0_21
; %bb.20:
	v_mul_f64 v[20:21], v[46:47], v[16:17]
	v_mul_f64 v[22:23], v[62:63], v[84:85]
	;; [unrolled: 1-line block ×8, first 2 shown]
	v_fma_f64 v[18:19], v[44:45], v[18:19], -v[20:21]
	v_fma_f64 v[20:21], v[60:61], v[86:87], -v[22:23]
	v_mul_f64 v[22:23], v[54:55], v[8:9]
	v_fma_f64 v[16:17], v[44:45], v[16:17], v[24:25]
	v_fma_f64 v[24:25], v[60:61], v[84:85], v[26:27]
	v_fma_f64 v[6:7], v[56:57], v[6:7], -v[28:29]
	v_mul_f64 v[28:29], v[54:55], v[10:11]
	v_fma_f64 v[14:15], v[48:49], v[14:15], -v[30:31]
	v_fma_f64 v[4:5], v[56:57], v[4:5], v[32:33]
	v_fma_f64 v[12:13], v[48:49], v[12:13], v[34:35]
	v_add_f64 v[26:27], v[18:19], v[20:21]
	v_fma_f64 v[10:11], v[52:53], v[10:11], -v[22:23]
	v_add_f64 v[32:33], v[18:19], -v[20:21]
	v_add_f64 v[22:23], v[16:17], v[24:25]
	v_add_f64 v[30:31], v[16:17], -v[24:25]
	v_fma_f64 v[8:9], v[52:53], v[8:9], v[28:29]
	v_fma_f64 v[26:27], v[26:27], -0.5, v[6:7]
	v_add_f64 v[28:29], v[10:11], v[14:15]
	v_add_f64 v[38:39], v[2:3], v[10:11]
	v_fma_f64 v[22:23], v[22:23], -0.5, v[4:5]
	v_add_f64 v[6:7], v[6:7], v[18:19]
	v_add_f64 v[36:37], v[8:9], -v[12:13]
	v_add_f64 v[4:5], v[4:5], v[16:17]
	v_add_f64 v[10:11], v[10:11], -v[14:15]
	v_fma_f64 v[34:35], v[30:31], s[2:3], v[26:27]
	v_fma_f64 v[26:27], v[30:31], s[8:9], v[26:27]
	v_add_f64 v[30:31], v[8:9], v[12:13]
	v_add_f64 v[8:9], v[0:1], v[8:9]
	v_fma_f64 v[2:3], v[28:29], -0.5, v[2:3]
	v_fma_f64 v[16:17], v[32:33], s[8:9], v[22:23]
	v_fma_f64 v[18:19], v[32:33], s[2:3], v[22:23]
	v_add_f64 v[14:15], v[38:39], v[14:15]
	v_add_f64 v[6:7], v[6:7], v[20:21]
	;; [unrolled: 1-line block ×3, first 2 shown]
	v_mul_f64 v[22:23], v[34:35], -0.5
	v_mul_f64 v[28:29], v[26:27], 0.5
	v_fma_f64 v[0:1], v[30:31], -0.5, v[0:1]
	v_mul_f64 v[26:27], v[26:27], s[2:3]
	v_mul_f64 v[30:31], v[34:35], s[2:3]
	v_add_f64 v[8:9], v[8:9], v[12:13]
	v_fma_f64 v[12:13], v[36:37], s[2:3], v[2:3]
	v_fma_f64 v[20:21], v[36:37], s[8:9], v[2:3]
	v_add_f64 v[2:3], v[14:15], -v[6:7]
	v_add_f64 v[6:7], v[14:15], v[6:7]
	v_fma_f64 v[22:23], v[16:17], s[8:9], v[22:23]
	v_fma_f64 v[24:25], v[18:19], s[8:9], v[28:29]
	;; [unrolled: 1-line block ×3, first 2 shown]
	v_fma_f64 v[26:27], v[18:19], 0.5, v[26:27]
	v_fma_f64 v[28:29], v[10:11], s[8:9], v[0:1]
	v_fma_f64 v[30:31], v[16:17], -0.5, v[30:31]
	v_add_f64 v[0:1], v[8:9], -v[4:5]
	v_add_f64 v[4:5], v[8:9], v[4:5]
	v_add_f64 v[10:11], v[12:13], -v[22:23]
	v_add_f64 v[14:15], v[20:21], -v[24:25]
	v_add_f64 v[18:19], v[12:13], v[22:23]
	v_add_f64 v[22:23], v[20:21], v[24:25]
	;; [unrolled: 1-line block ×4, first 2 shown]
	v_add_f64 v[12:13], v[32:33], -v[26:27]
	v_add_f64 v[8:9], v[28:29], -v[30:31]
	ds_write_b128 v214, v[4:7] offset:1248
	ds_write_b128 v214, v[0:3] offset:8112
	;; [unrolled: 1-line block ×6, first 2 shown]
.LBB0_21:
	s_or_b32 exec_lo, exec_lo, s1
	s_waitcnt lgkmcnt(0)
	s_barrier
	buffer_gl0_inv
	s_and_b32 exec_lo, exec_lo, vcc_lo
	s_cbranch_execz .LBB0_23
; %bb.22:
	v_add_co_u32 v0, s0, s14, v210
	v_add_co_ci_u32_e64 v1, null, s15, 0, s0
	s_clause 0x1
	global_load_dwordx4 v[2:5], v210, s[14:15]
	global_load_dwordx4 v[6:9], v210, s[14:15] offset:1056
	v_add_co_u32 v14, vcc_lo, 0x800, v0
	v_add_co_ci_u32_e32 v15, vcc_lo, 0, v1, vcc_lo
	v_add_co_u32 v22, vcc_lo, 0x1000, v0
	v_add_co_ci_u32_e32 v23, vcc_lo, 0, v1, vcc_lo
	v_add_co_u32 v30, vcc_lo, 0x1800, v0
	v_add_co_ci_u32_e32 v31, vcc_lo, 0, v1, vcc_lo
	v_add_co_u32 v38, vcc_lo, 0x2000, v0
	v_add_co_ci_u32_e32 v39, vcc_lo, 0, v1, vcc_lo
	v_add_co_u32 v46, vcc_lo, 0x2800, v0
	s_clause 0x5
	global_load_dwordx4 v[10:13], v[14:15], off offset:64
	global_load_dwordx4 v[14:17], v[14:15], off offset:1120
	;; [unrolled: 1-line block ×6, first 2 shown]
	v_add_co_ci_u32_e32 v47, vcc_lo, 0, v1, vcc_lo
	s_clause 0x3
	global_load_dwordx4 v[34:37], v[38:39], off offset:256
	global_load_dwordx4 v[38:41], v[38:39], off offset:1312
	global_load_dwordx4 v[42:45], v[46:47], off offset:320
	global_load_dwordx4 v[46:49], v[46:47], off offset:1376
	v_mad_u64_u32 v[50:51], null, s6, v136, 0
	v_mad_u64_u32 v[52:53], null, s4, v209, 0
	s_mul_i32 s0, s5, 0x420
	s_mul_hi_u32 s1, s4, 0x420
	s_mul_i32 s2, s4, 0x420
	s_add_i32 s3, s1, s0
	s_mov_b32 s0, 0x58e9ebb6
	s_mov_b32 s1, 0x3f531877
	v_mad_u64_u32 v[54:55], null, s7, v136, v[51:52]
	v_mad_u64_u32 v[55:56], null, s5, v209, v[53:54]
	v_mov_b32_e32 v51, v54
	v_lshlrev_b64 v[50:51], 4, v[50:51]
	v_mov_b32_e32 v53, v55
	v_lshlrev_b64 v[52:53], 4, v[52:53]
	v_add_co_u32 v50, vcc_lo, s12, v50
	v_add_co_ci_u32_e32 v51, vcc_lo, s13, v51, vcc_lo
	v_add_co_u32 v98, vcc_lo, v50, v52
	v_add_co_ci_u32_e32 v99, vcc_lo, v51, v53, vcc_lo
	ds_read_b128 v[50:53], v214
	ds_read_b128 v[54:57], v214 offset:1056
	ds_read_b128 v[58:61], v214 offset:2112
	;; [unrolled: 1-line block ×11, first 2 shown]
	v_add_co_u32 v100, vcc_lo, v98, s2
	v_add_co_ci_u32_e32 v101, vcc_lo, s3, v99, vcc_lo
	v_add_co_u32 v102, vcc_lo, v100, s2
	v_add_co_ci_u32_e32 v103, vcc_lo, s3, v101, vcc_lo
	;; [unrolled: 2-line block ×9, first 2 shown]
	s_waitcnt vmcnt(11) lgkmcnt(11)
	v_mul_f64 v[118:119], v[52:53], v[4:5]
	v_mul_f64 v[4:5], v[50:51], v[4:5]
	s_waitcnt vmcnt(10) lgkmcnt(10)
	v_mul_f64 v[120:121], v[56:57], v[8:9]
	v_mul_f64 v[8:9], v[54:55], v[8:9]
	;; [unrolled: 3-line block ×12, first 2 shown]
	v_fma_f64 v[50:51], v[50:51], v[2:3], v[118:119]
	v_fma_f64 v[4:5], v[2:3], v[52:53], -v[4:5]
	v_fma_f64 v[52:53], v[54:55], v[6:7], v[120:121]
	v_fma_f64 v[8:9], v[6:7], v[56:57], -v[8:9]
	;; [unrolled: 2-line block ×12, first 2 shown]
	v_mul_f64 v[2:3], v[50:51], s[0:1]
	v_mul_f64 v[4:5], v[4:5], s[0:1]
	;; [unrolled: 1-line block ×24, first 2 shown]
	v_add_co_u32 v50, vcc_lo, v116, s2
	v_add_co_ci_u32_e32 v51, vcc_lo, s3, v117, vcc_lo
	v_add_co_u32 v0, vcc_lo, 0x3000, v0
	v_add_co_ci_u32_e32 v1, vcc_lo, 0, v1, vcc_lo
	;; [unrolled: 2-line block ×3, first 2 shown]
	global_store_dwordx4 v[98:99], v[2:5], off
	global_store_dwordx4 v[100:101], v[6:9], off
	;; [unrolled: 1-line block ×12, first 2 shown]
	global_load_dwordx4 v[0:3], v[0:1], off offset:384
	ds_read_b128 v[4:7], v214 offset:12672
	s_waitcnt vmcnt(0) lgkmcnt(0)
	v_mul_f64 v[8:9], v[6:7], v[2:3]
	v_mul_f64 v[2:3], v[4:5], v[2:3]
	v_fma_f64 v[4:5], v[4:5], v[0:1], v[8:9]
	v_fma_f64 v[2:3], v[0:1], v[6:7], -v[2:3]
	v_mul_f64 v[0:1], v[4:5], s[0:1]
	v_mul_f64 v[2:3], v[2:3], s[0:1]
	v_add_co_u32 v4, vcc_lo, v52, s2
	v_add_co_ci_u32_e32 v5, vcc_lo, s3, v53, vcc_lo
	global_store_dwordx4 v[4:5], v[0:3], off
.LBB0_23:
	s_endpgm
	.section	.rodata,"a",@progbits
	.p2align	6, 0x0
	.amdhsa_kernel bluestein_single_back_len858_dim1_dp_op_CI_CI
		.amdhsa_group_segment_fixed_size 41184
		.amdhsa_private_segment_fixed_size 0
		.amdhsa_kernarg_size 104
		.amdhsa_user_sgpr_count 6
		.amdhsa_user_sgpr_private_segment_buffer 1
		.amdhsa_user_sgpr_dispatch_ptr 0
		.amdhsa_user_sgpr_queue_ptr 0
		.amdhsa_user_sgpr_kernarg_segment_ptr 1
		.amdhsa_user_sgpr_dispatch_id 0
		.amdhsa_user_sgpr_flat_scratch_init 0
		.amdhsa_user_sgpr_private_segment_size 0
		.amdhsa_wavefront_size32 1
		.amdhsa_uses_dynamic_stack 0
		.amdhsa_system_sgpr_private_segment_wavefront_offset 0
		.amdhsa_system_sgpr_workgroup_id_x 1
		.amdhsa_system_sgpr_workgroup_id_y 0
		.amdhsa_system_sgpr_workgroup_id_z 0
		.amdhsa_system_sgpr_workgroup_info 0
		.amdhsa_system_vgpr_workitem_id 0
		.amdhsa_next_free_vgpr 241
		.amdhsa_next_free_sgpr 46
		.amdhsa_reserve_vcc 1
		.amdhsa_reserve_flat_scratch 0
		.amdhsa_float_round_mode_32 0
		.amdhsa_float_round_mode_16_64 0
		.amdhsa_float_denorm_mode_32 3
		.amdhsa_float_denorm_mode_16_64 3
		.amdhsa_dx10_clamp 1
		.amdhsa_ieee_mode 1
		.amdhsa_fp16_overflow 0
		.amdhsa_workgroup_processor_mode 1
		.amdhsa_memory_ordered 1
		.amdhsa_forward_progress 0
		.amdhsa_shared_vgpr_count 0
		.amdhsa_exception_fp_ieee_invalid_op 0
		.amdhsa_exception_fp_denorm_src 0
		.amdhsa_exception_fp_ieee_div_zero 0
		.amdhsa_exception_fp_ieee_overflow 0
		.amdhsa_exception_fp_ieee_underflow 0
		.amdhsa_exception_fp_ieee_inexact 0
		.amdhsa_exception_int_div_zero 0
	.end_amdhsa_kernel
	.text
.Lfunc_end0:
	.size	bluestein_single_back_len858_dim1_dp_op_CI_CI, .Lfunc_end0-bluestein_single_back_len858_dim1_dp_op_CI_CI
                                        ; -- End function
	.section	.AMDGPU.csdata,"",@progbits
; Kernel info:
; codeLenInByte = 21152
; NumSgprs: 48
; NumVgprs: 241
; ScratchSize: 0
; MemoryBound: 0
; FloatMode: 240
; IeeeMode: 1
; LDSByteSize: 41184 bytes/workgroup (compile time only)
; SGPRBlocks: 5
; VGPRBlocks: 30
; NumSGPRsForWavesPerEU: 48
; NumVGPRsForWavesPerEU: 241
; Occupancy: 4
; WaveLimiterHint : 1
; COMPUTE_PGM_RSRC2:SCRATCH_EN: 0
; COMPUTE_PGM_RSRC2:USER_SGPR: 6
; COMPUTE_PGM_RSRC2:TRAP_HANDLER: 0
; COMPUTE_PGM_RSRC2:TGID_X_EN: 1
; COMPUTE_PGM_RSRC2:TGID_Y_EN: 0
; COMPUTE_PGM_RSRC2:TGID_Z_EN: 0
; COMPUTE_PGM_RSRC2:TIDIG_COMP_CNT: 0
	.text
	.p2alignl 6, 3214868480
	.fill 48, 4, 3214868480
	.type	__hip_cuid_942c70ddb4d5ea64,@object ; @__hip_cuid_942c70ddb4d5ea64
	.section	.bss,"aw",@nobits
	.globl	__hip_cuid_942c70ddb4d5ea64
__hip_cuid_942c70ddb4d5ea64:
	.byte	0                               ; 0x0
	.size	__hip_cuid_942c70ddb4d5ea64, 1

	.ident	"AMD clang version 19.0.0git (https://github.com/RadeonOpenCompute/llvm-project roc-6.4.0 25133 c7fe45cf4b819c5991fe208aaa96edf142730f1d)"
	.section	".note.GNU-stack","",@progbits
	.addrsig
	.addrsig_sym __hip_cuid_942c70ddb4d5ea64
	.amdgpu_metadata
---
amdhsa.kernels:
  - .args:
      - .actual_access:  read_only
        .address_space:  global
        .offset:         0
        .size:           8
        .value_kind:     global_buffer
      - .actual_access:  read_only
        .address_space:  global
        .offset:         8
        .size:           8
        .value_kind:     global_buffer
      - .actual_access:  read_only
        .address_space:  global
        .offset:         16
        .size:           8
        .value_kind:     global_buffer
      - .actual_access:  read_only
        .address_space:  global
        .offset:         24
        .size:           8
        .value_kind:     global_buffer
      - .actual_access:  read_only
        .address_space:  global
        .offset:         32
        .size:           8
        .value_kind:     global_buffer
      - .offset:         40
        .size:           8
        .value_kind:     by_value
      - .address_space:  global
        .offset:         48
        .size:           8
        .value_kind:     global_buffer
      - .address_space:  global
        .offset:         56
        .size:           8
        .value_kind:     global_buffer
      - .address_space:  global
        .offset:         64
        .size:           8
        .value_kind:     global_buffer
      - .address_space:  global
        .offset:         72
        .size:           8
        .value_kind:     global_buffer
      - .offset:         80
        .size:           4
        .value_kind:     by_value
      - .address_space:  global
        .offset:         88
        .size:           8
        .value_kind:     global_buffer
      - .address_space:  global
        .offset:         96
        .size:           8
        .value_kind:     global_buffer
    .group_segment_fixed_size: 41184
    .kernarg_segment_align: 8
    .kernarg_segment_size: 104
    .language:       OpenCL C
    .language_version:
      - 2
      - 0
    .max_flat_workgroup_size: 234
    .name:           bluestein_single_back_len858_dim1_dp_op_CI_CI
    .private_segment_fixed_size: 0
    .sgpr_count:     48
    .sgpr_spill_count: 0
    .symbol:         bluestein_single_back_len858_dim1_dp_op_CI_CI.kd
    .uniform_work_group_size: 1
    .uses_dynamic_stack: false
    .vgpr_count:     241
    .vgpr_spill_count: 0
    .wavefront_size: 32
    .workgroup_processor_mode: 1
amdhsa.target:   amdgcn-amd-amdhsa--gfx1030
amdhsa.version:
  - 1
  - 2
...

	.end_amdgpu_metadata
